;; amdgpu-corpus repo=ROCm/aiter kind=harvested arch=n/a opt=n/a

/root/src/amdgpu-assembly/repos/ROCm__aiter/hsa/gfx950/fmoe/silu/fmoe_fp16_pertokenInt8_g1u0_vs_silu_1tg_32x256.co:	file format elf64-amdgpu

Disassembly of section .text:

0000000000002e00 <_ZN5aiter46fmoe_fp16_pertokenInt8_g1u0_vs_silu_1tg_32x256E>:
	s_and_b32 s1, s1, 0xffff                                   // 000000002E00: 8601FF01 0000FFFF
	s_load_dwordx2 s[8:9], s[0:1], 0x0                         // 000000002E08: C0060200 00000000
	s_load_dwordx2 s[20:21], s[0:1], 0x10                      // 000000002E10: C0060500 00000010
	s_load_dwordx2 s[24:25], s[0:1], 0x20                      // 000000002E18: C0060600 00000020
	s_load_dwordx2 s[50:51], s[0:1], 0x30                      // 000000002E20: C0060C80 00000030
	s_load_dwordx2 s[12:13], s[0:1], 0x40                      // 000000002E28: C0060300 00000040
	s_load_dwordx2 s[28:29], s[0:1], 0x50                      // 000000002E30: C0060700 00000050
	s_load_dwordx2 s[32:33], s[0:1], 0x60                      // 000000002E38: C0060800 00000060
	s_load_dwordx2 s[16:17], s[0:1], 0x70                      // 000000002E40: C0060400 00000070
	s_load_dwordx2 s[36:37], s[0:1], 0x80                      // 000000002E48: C0060900 00000080
	s_load_dwordx2 s[44:45], s[0:1], 0x90                      // 000000002E50: C0060B00 00000090
	s_load_dwordx2 s[40:41], s[0:1], 0xa0                      // 000000002E58: C0060A00 000000A0
	s_load_dwordx2 s[46:47], s[0:1], 0xb0                      // 000000002E60: C0060B80 000000B0
	s_load_dword s64, s[0:1], 0xc0                             // 000000002E68: C0021000 000000C0
	s_load_dword s65, s[0:1], 0xd0                             // 000000002E70: C0021040 000000D0
	s_load_dword s66, s[0:1], 0xe0                             // 000000002E78: C0021080 000000E0
	s_load_dword s67, s[0:1], 0xf0                             // 000000002E80: C00210C0 000000F0
	s_load_dword s68, s[0:1], 0x100                            // 000000002E88: C0021100 00000100
	s_load_dword s69, s[0:1], 0x110                            // 000000002E90: C0021140 00000110
	s_load_dword s70, s[0:1], 0x120                            // 000000002E98: C0021180 00000120
	s_load_dword s71, s[0:1], 0x130                            // 000000002EA0: C00211C0 00000130
	s_load_dword s72, s[0:1], 0x140                            // 000000002EA8: C0021200 00000140
	s_load_dword s73, s[0:1], 0x150                            // 000000002EB0: C0021240 00000150
	s_load_dword s74, s[0:1], 0x160                            // 000000002EB8: C0021280 00000160
	s_load_dword s75, s[0:1], 0x170                            // 000000002EC0: C00212C0 00000170
	s_load_dword s76, s[0:1], 0x180                            // 000000002EC8: C0021300 00000180
	s_load_dword s63, s[0:1], 0x190                            // 000000002ED0: C0020FC0 00000190
	v_lshrrev_b32_e32 v1, 10, v0                               // 000000002ED8: 2002008A
	v_lshrrev_b32_e32 v2, 10, v1                               // 000000002EDC: 2004028A
	v_and_b32_e32 v2, 0x3ff, v2                                // 000000002EE0: 260404FF 000003FF
	v_and_b32_e32 v1, 0x3ff, v1                                // 000000002EE8: 260202FF 000003FF
	v_and_b32_e32 v0, 0x3ff, v0                                // 000000002EF0: 260000FF 000003FF
	v_lshrrev_b32_e32 v3, 6, v0                                // 000000002EF8: 20060086
	v_and_b32_e32 v0, 63, v0                                   // 000000002EFC: 260000BF
	s_mov_b32 s2, s2                                           // 000000002F00: BE820002
	s_mov_b32 s3, s3                                           // 000000002F04: BE830003
	s_mov_b32 s4, s4                                           // 000000002F08: BE840004
	v_readfirstlane_b32 s7, v3                                 // 000000002F0C: 7E0E0503
	s_waitcnt lgkmcnt(0)                                       // 000000002F10: BF8CC07F
	s_and_b32 s51, s51, 0xffff                                 // 000000002F14: 8633FF33 0000FFFF
	s_load_dword s50, s[50:51], 0x0                            // 000000002F1C: C0020C99 00000000
	s_and_b32 s45, s45, 0xffff                                 // 000000002F24: 862DFF2D 0000FFFF
	s_and_b32 s47, s47, 0xffff                                 // 000000002F2C: 862FFF2F 0000FFFF
	s_and_b32 s9, s9, 0xffff                                   // 000000002F34: 8609FF09 0000FFFF
	s_mul_i32 s60, s66, s68                                    // 000000002F3C: 923C4442
	s_mul_i32 s60, s63, s60                                    // 000000002F40: 923C3C3F
	s_mul_i32 s61, s66, 4                                      // 000000002F44: 923D8442
	s_mul_i32 s61, s63, s61                                    // 000000002F48: 923D3D3F
	s_mov_b32 s22, s60                                         // 000000002F4C: BE96003C
	s_mov_b32 s26, -16                                         // 000000002F50: BE9A00D0
	s_mov_b32 s14, -16                                         // 000000002F54: BE8E00D0
	s_mov_b32 s42, -16                                         // 000000002F58: BEAA00D0
	s_mov_b32 s30, s61                                         // 000000002F5C: BE9E003D
	s_mov_b32 s34, 0x400                                       // 000000002F60: BEA200FF 00000400
	s_mov_b32 s38, 0x400                                       // 000000002F68: BEA600FF 00000400
	s_mov_b32 s18, -16                                         // 000000002F70: BE9200D0
	s_mov_b32 s23, 0x20000                                     // 000000002F74: BE9700FF 00020000
	s_mov_b32 s27, 0x20000                                     // 000000002F7C: BE9B00FF 00020000
	s_mov_b32 s15, 0x20000                                     // 000000002F84: BE8F00FF 00020000
	s_mov_b32 s43, 0x20000                                     // 000000002F8C: BEAB00FF 00020000
	s_mov_b32 s31, 0x20000                                     // 000000002F94: BE9F00FF 00020000
	s_mov_b32 s35, 0x20000                                     // 000000002F9C: BEA300FF 00020000
	s_mov_b32 s39, 0x20000                                     // 000000002FA4: BEA700FF 00020000
	s_mov_b32 s19, 0x20000                                     // 000000002FAC: BE9300FF 00020000
	s_and_b32 s21, s21, 0xffff                                 // 000000002FB4: 8615FF15 0000FFFF
	s_and_b32 s25, s25, 0xffff                                 // 000000002FBC: 8619FF19 0000FFFF
	s_and_b32 s13, s13, 0xffff                                 // 000000002FC4: 860DFF0D 0000FFFF
	s_and_b32 s41, s41, 0xffff                                 // 000000002FCC: 8629FF29 0000FFFF
	s_and_b32 s29, s29, 0xffff                                 // 000000002FD4: 861DFF1D 0000FFFF
	s_and_b32 s33, s33, 0xffff                                 // 000000002FDC: 8621FF21 0000FFFF
	s_and_b32 s37, s37, 0xffff                                 // 000000002FE4: 8625FF25 0000FFFF
	s_and_b32 s17, s17, 0xffff                                 // 000000002FEC: 8611FF11 0000FFFF
	s_or_b32 s21, s21, 0x40000                                 // 000000002FF4: 8715FF15 00040000
	s_or_b32 s25, s25, 0x40000                                 // 000000002FFC: 8719FF19 00040000
	s_or_b32 s13, s13, 0x40000                                 // 000000003004: 870DFF0D 00040000
	s_or_b32 s41, s41, 0x40000                                 // 00000000300C: 8729FF29 00040000
	s_or_b32 s29, s29, 0x40000                                 // 000000003014: 871DFF1D 00040000
	s_or_b32 s33, s33, 0x40000                                 // 00000000301C: 8721FF21 00040000
	s_or_b32 s37, s37, 0x40000                                 // 000000003024: 8725FF25 00040000
	s_or_b32 s17, s17, 0x40000                                 // 00000000302C: 8711FF11 00040000
	v_accvgpr_write_b32 a127, 0                                // 000000003034: D3D9407F 18000080
	v_mov_b32_e32 v223, 0                                      // 00000000303C: 7FBE0280
	s_waitcnt lgkmcnt(0)                                       // 000000003040: BF8CC07F
	s_mul_i32 s60, s3, 32                                      // 000000003044: 923CA003
	s_cmp_lt_i32 s60, s50                                      // 000000003048: BF04323C
	s_cbranch_scc0 label_13CD                                  // 00000000304C: BF841339
	s_mov_b32 s80, 0                                           // 000000003050: BED00080
	s_mov_b32 s81, s64                                         // 000000003054: BED10040
	s_mul_i32 s60, s3, 4                                       // 000000003058: 923C8403
	s_add_u32 s46, s60, s46                                    // 00000000305C: 802E2E3C
	s_addc_u32 s47, 0, s47                                     // 000000003060: 822F2F80
	s_load_dword s5, s[46:47], 0x0                             // 000000003064: C0020157 00000000
	s_mul_i32 s60, s3, 32                                      // 00000000306C: 923CA003
	s_mul_i32 s60, 4, s60                                      // 000000003070: 923C3C84
	v_and_b32_e32 v44, 15, v0                                  // 000000003074: 2658008F
	v_lshlrev_b32_e32 v44, 2, v44                              // 000000003078: 24585882
	v_add_u32_e32 v44, s60, v44                                // 00000000307C: 6858583C
	v_mov_b32_e32 v45, 0                                       // 000000003080: 7E5A0280
	global_load_dword v6, v44, s[44:45]                        // 000000003084: DC508000 062C002C
	v_add_u32_e32 v44, 64, v44                                 // 00000000308C: 685858C0
	global_load_dword v7, v44, s[44:45]                        // 000000003090: DC508000 072C002C
	s_mul_i32 s60, s3, 32                                      // 000000003098: 923CA003
	s_add_u32 s60, s7, s60                                     // 00000000309C: 803C3C07
	s_mul_i32 s60, 4, s60                                      // 0000000030A0: 923C3C84
	s_add_u32 s44, s60, s44                                    // 0000000030A4: 802C2C3C
	s_addc_u32 s45, 0, s45                                     // 0000000030A8: 822D2D80
	s_load_dword s82, s[44:45], 0x0                            // 0000000030AC: C0021496 00000000
	s_load_dword s83, s[44:45], 0x10                           // 0000000030B4: C00214D6 00000010
	s_load_dword s84, s[44:45], 0x20                           // 0000000030BC: C0021516 00000020
	s_load_dword s85, s[44:45], 0x30                           // 0000000030C4: C0021556 00000030
	s_load_dword s86, s[44:45], 0x40                           // 0000000030CC: C0021596 00000040
	s_load_dword s87, s[44:45], 0x50                           // 0000000030D4: C00215D6 00000050
	s_load_dword s88, s[44:45], 0x60                           // 0000000030DC: C0021616 00000060
	s_load_dword s89, s[44:45], 0x70                           // 0000000030E4: C0021656 00000070
	s_waitcnt lgkmcnt(0)                                       // 0000000030EC: BF8CC07F
	v_lshlrev_b32_e32 v44, 2, v0                               // 0000000030F0: 24580082
	s_lshr_b32 s61, s82, 24                                    // 0000000030F4: 8F3D9852
	s_mul_i32 s61, s61, s68                                    // 0000000030F8: 923D443D
	s_mul_i32 s61, s61, s66                                    // 0000000030FC: 923D423D
	s_and_b32 s82, s82, 0xffffff                               // 000000003100: 8652FF52 00FFFFFF
	s_mul_i32 s60, s82, s68                                    // 000000003108: 923C4452
	s_add_u32 s60, s61, s60                                    // 00000000310C: 803C3C3D
	v_add_u32_e64 v24, v44, s60                                // 000000003110: D1340018 0000792C
	s_lshr_b32 s61, s83, 24                                    // 000000003118: 8F3D9853
	s_mul_i32 s61, s61, s68                                    // 00000000311C: 923D443D
	s_mul_i32 s61, s61, s66                                    // 000000003120: 923D423D
	s_and_b32 s83, s83, 0xffffff                               // 000000003124: 8653FF53 00FFFFFF
	s_mul_i32 s60, s83, s68                                    // 00000000312C: 923C4453
	s_add_u32 s60, s61, s60                                    // 000000003130: 803C3C3D
	v_add_u32_e64 v25, v44, s60                                // 000000003134: D1340019 0000792C
	s_lshr_b32 s61, s84, 24                                    // 00000000313C: 8F3D9854
	s_mul_i32 s61, s61, s68                                    // 000000003140: 923D443D
	s_mul_i32 s61, s61, s66                                    // 000000003144: 923D423D
	s_and_b32 s84, s84, 0xffffff                               // 000000003148: 8654FF54 00FFFFFF
	s_mul_i32 s60, s84, s68                                    // 000000003150: 923C4454
	s_add_u32 s60, s61, s60                                    // 000000003154: 803C3C3D
	v_add_u32_e64 v26, v44, s60                                // 000000003158: D134001A 0000792C
	s_lshr_b32 s61, s85, 24                                    // 000000003160: 8F3D9855
	s_mul_i32 s61, s61, s68                                    // 000000003164: 923D443D
	s_mul_i32 s61, s61, s66                                    // 000000003168: 923D423D
	s_and_b32 s85, s85, 0xffffff                               // 00000000316C: 8655FF55 00FFFFFF
	s_mul_i32 s60, s85, s68                                    // 000000003174: 923C4455
	s_add_u32 s60, s61, s60                                    // 000000003178: 803C3C3D
	v_add_u32_e64 v27, v44, s60                                // 00000000317C: D134001B 0000792C
	s_lshr_b32 s61, s86, 24                                    // 000000003184: 8F3D9856
	s_mul_i32 s61, s61, s68                                    // 000000003188: 923D443D
	s_mul_i32 s61, s61, s66                                    // 00000000318C: 923D423D
	s_and_b32 s86, s86, 0xffffff                               // 000000003190: 8656FF56 00FFFFFF
	s_mul_i32 s60, s86, s68                                    // 000000003198: 923C4456
	s_add_u32 s60, s61, s60                                    // 00000000319C: 803C3C3D
	v_add_u32_e64 v28, v44, s60                                // 0000000031A0: D134001C 0000792C
	s_lshr_b32 s61, s87, 24                                    // 0000000031A8: 8F3D9857
	s_mul_i32 s61, s61, s68                                    // 0000000031AC: 923D443D
	s_mul_i32 s61, s61, s66                                    // 0000000031B0: 923D423D
	s_and_b32 s87, s87, 0xffffff                               // 0000000031B4: 8657FF57 00FFFFFF
	s_mul_i32 s60, s87, s68                                    // 0000000031BC: 923C4457
	s_add_u32 s60, s61, s60                                    // 0000000031C0: 803C3C3D
	v_add_u32_e64 v29, v44, s60                                // 0000000031C4: D134001D 0000792C
	s_lshr_b32 s61, s88, 24                                    // 0000000031CC: 8F3D9858
	s_mul_i32 s61, s61, s68                                    // 0000000031D0: 923D443D
	s_mul_i32 s61, s61, s66                                    // 0000000031D4: 923D423D
	s_and_b32 s88, s88, 0xffffff                               // 0000000031D8: 8658FF58 00FFFFFF
	s_mul_i32 s60, s88, s68                                    // 0000000031E0: 923C4458
	s_add_u32 s60, s61, s60                                    // 0000000031E4: 803C3C3D
	v_add_u32_e64 v30, v44, s60                                // 0000000031E8: D134001E 0000792C
	s_lshr_b32 s61, s89, 24                                    // 0000000031F0: 8F3D9859
	s_mul_i32 s61, s61, s68                                    // 0000000031F4: 923D443D
	s_mul_i32 s61, s61, s66                                    // 0000000031F8: 923D423D
	s_and_b32 s89, s89, 0xffffff                               // 0000000031FC: 8659FF59 00FFFFFF
	s_mul_i32 s60, s89, s68                                    // 000000003204: 923C4459
	s_add_u32 s60, s61, s60                                    // 000000003208: 803C3C3D
	v_add_u32_e64 v31, v44, s60                                // 00000000320C: D134001F 0000792C
	v_lshlrev_b32_e32 v44, 2, v0                               // 000000003214: 24580082
	s_mul_i32 s60, s82, s71                                    // 000000003218: 923C4752
	v_add_u32_e64 v80, v44, s60                                // 00000000321C: D1340050 0000792C
	v_mov_b32_e32 v81, 0                                       // 000000003224: 7EA20280
	s_mul_i32 s60, s83, s71                                    // 000000003228: 923C4753
	v_add_u32_e64 v82, v44, s60                                // 00000000322C: D1340052 0000792C
	v_mov_b32_e32 v83, 0                                       // 000000003234: 7EA60280
	s_mul_i32 s60, s84, s71                                    // 000000003238: 923C4754
	v_add_u32_e64 v84, v44, s60                                // 00000000323C: D1340054 0000792C
	v_mov_b32_e32 v85, 0                                       // 000000003244: 7EAA0280
	s_mul_i32 s60, s85, s71                                    // 000000003248: 923C4755
	v_add_u32_e64 v86, v44, s60                                // 00000000324C: D1340056 0000792C
	v_mov_b32_e32 v87, 0                                       // 000000003254: 7EAE0280
	s_mul_i32 s60, s86, s71                                    // 000000003258: 923C4756
	v_add_u32_e64 v88, v44, s60                                // 00000000325C: D1340058 0000792C
	v_mov_b32_e32 v89, 0                                       // 000000003264: 7EB20280
	s_mul_i32 s60, s87, s71                                    // 000000003268: 923C4757
	v_add_u32_e64 v90, v44, s60                                // 00000000326C: D134005A 0000792C
	v_mov_b32_e32 v91, 0                                       // 000000003274: 7EB60280
	s_mul_i32 s60, s88, s71                                    // 000000003278: 923C4758
	v_add_u32_e64 v92, v44, s60                                // 00000000327C: D134005C 0000792C
	v_mov_b32_e32 v93, 0                                       // 000000003284: 7EBA0280
	s_mul_i32 s60, s89, s71                                    // 000000003288: 923C4759
	v_add_u32_e64 v94, v44, s60                                // 00000000328C: D134005E 0000792C
	v_mov_b32_e32 v95, 0                                       // 000000003294: 7EBE0280
	s_mul_i32 s60, s7, 0x820                                   // 000000003298: 923CFF07 00000820
	s_add_u32 s50, 0, s60                                      // 0000000032A0: 80323C80
	s_add_u32 s51, 0x2080, s50                                 // 0000000032A4: 803332FF 00002080
	v_lshrrev_b32_e32 v44, 4, v0                               // 0000000032AC: 20580084
	v_lshlrev_b32_e32 v45, 2, v44                              // 0000000032B0: 245A5882
	v_and_b32_e32 v44, 15, v0                                  // 0000000032B4: 2658008F
	v_lshrrev_b32_e32 v46, 2, v44                              // 0000000032B8: 205C5882
	v_lshlrev_b32_e32 v46, 6, v46                              // 0000000032BC: 245C5C86
	v_add_u32_e32 v45, v46, v45                                // 0000000032C0: 685A5B2E
	v_and_b32_e32 v44, 3, v0                                   // 0000000032C4: 26580083
	v_mul_i32_i24_e32 v46, 0x208, v44                          // 0000000032C8: 0C5C58FF 00000208
	v_add_u32_e32 v45, v46, v45                                // 0000000032D0: 685A5B2E
	v_lshlrev_b32_e32 v2, 2, v45                               // 0000000032D4: 24045A82
	s_mul_i32 s60, s2, 0x100                                   // 0000000032D8: 923CFF02 00000100
	s_mul_i32 s60, s60, s69                                    // 0000000032E0: 923C453C
	s_mul_i32 s61, s5, s72                                     // 0000000032E4: 923D4805
	s_add_u32 s60, s61, s60                                    // 0000000032E8: 803C3C3D
	s_add_u32 s24, s60, s24                                    // 0000000032EC: 8018183C
	s_addc_u32 s25, 0, s25                                     // 0000000032F0: 82191980
	s_mul_i32 s60, s7, 16                                      // 0000000032F4: 923C9007
	s_mul_i32 s60, s60, s69                                    // 0000000032F8: 923C453C
	v_lshlrev_b32_e32 v32, 4, v0                               // 0000000032FC: 24400084
	v_add_u32_e32 v32, s60, v32                                // 000000003300: 6840403C
	s_mul_i32 s60, 64, s69                                     // 000000003304: 923C45C0
	v_add_u32_e32 v33, s60, v32                                // 000000003308: 6842403C
	v_add_u32_e32 v34, s60, v33                                // 00000000330C: 6844423C
	v_add_u32_e32 v35, s60, v34                                // 000000003310: 6846443C
	s_mul_i32 s60, s2, 0x1000                                  // 000000003314: 923CFF02 00001000
	s_mul_i32 s61, s5, s73                                     // 00000000331C: 923D4905
	s_add_u32 s60, s61, s60                                    // 000000003320: 803C3C3D
	s_add_u32 s12, s60, s12                                    // 000000003324: 800C0C3C
	s_addc_u32 s13, 0, s13                                     // 000000003328: 820D0D80
	s_mul_i32 s60, s7, 16                                      // 00000000332C: 923C9007
	s_mul_i32 s60, s60, s70                                    // 000000003330: 923C463C
	v_lshlrev_b32_e32 v36, 4, v0                               // 000000003334: 24480084
	v_add_u32_e32 v36, s60, v36                                // 000000003338: 6848483C
	s_mul_i32 s60, 64, s70                                     // 00000000333C: 923C46C0
	v_add_u32_e32 v37, s60, v36                                // 000000003340: 684A483C
	v_add_u32_e32 v38, s60, v37                                // 000000003344: 684C4A3C
	v_add_u32_e32 v39, s60, v38                                // 000000003348: 684E4C3C
	s_mul_i32 s60, s3, 32                                      // 00000000334C: 923CA003
	s_mul_i32 s60, 4, s60                                      // 000000003350: 923C3C84
	s_add_u32 s40, s60, s40                                    // 000000003354: 8028283C
	s_addc_u32 s41, 0, s41                                     // 000000003358: 82292980
	v_and_b32_e32 v44, 15, v0                                  // 00000000335C: 2658008F
	v_lshlrev_b32_e32 v8, 2, v44                               // 000000003360: 24105882
	v_add_u32_e32 v9, 64, v8                                   // 000000003364: 681210C0
	v_lshrrev_b32_e32 v44, 4, v0                               // 000000003368: 20580084
	v_lshlrev_b32_e32 v45, 2, v44                              // 00000000336C: 245A5882
	v_and_b32_e32 v44, 15, v0                                  // 000000003370: 2658008F
	v_lshrrev_b32_e32 v46, 2, v44                              // 000000003374: 205C5882
	v_lshlrev_b32_e32 v46, 6, v46                              // 000000003378: 245C5C86
	v_add_u32_e32 v45, v46, v45                                // 00000000337C: 685A5B2E
	v_and_b32_e32 v44, 3, v0                                   // 000000003380: 26580083
	v_add_u32_e32 v45, v44, v45                                // 000000003384: 685A5B2C
	v_lshlrev_b32_e32 v10, 2, v45                              // 000000003388: 24145A82
	v_add_u32_e32 v11, 0x400, v10                              // 00000000338C: 681614FF 00000400
	s_mul_i32 s60, s7, 16                                      // 000000003394: 923C9007
	s_mul_i32 s60, s60, 4                                      // 000000003398: 923C843C
	v_add_u32_e32 v10, s60, v10                                // 00000000339C: 6814143C
	v_add_u32_e32 v11, s60, v11                                // 0000000033A0: 6816163C
	v_mov_b32_e32 v5, v10                                      // 0000000033A4: 7E0A030A
	s_mul_i32 s60, s2, 0x100                                   // 0000000033A8: 923CFF02 00000100
	s_mul_i32 s60, s60, 4                                      // 0000000033B0: 923C843C
	s_mul_i32 s61, s5, s74                                     // 0000000033B4: 923D4A05
	s_add_u32 s61, s61, s60                                    // 0000000033B8: 803D3C3D
	s_mul_i32 s62, s5, s76                                     // 0000000033BC: 923E4C05
	s_add_u32 s62, s62, s60                                    // 0000000033C0: 803E3C3E
	s_add_u32 s32, s61, s32                                    // 0000000033C4: 8020203D
	s_addc_u32 s33, 0, s33                                     // 0000000033C8: 82212180
	s_add_u32 s36, s62, s36                                    // 0000000033CC: 8024243E
	s_addc_u32 s37, 0, s37                                     // 0000000033D0: 82252580
	s_mul_i32 s60, s5, s75                                     // 0000000033D4: 923C4B05
	s_add_u32 s16, s60, s16                                    // 0000000033D8: 8010103C
	s_addc_u32 s17, 0, s17                                     // 0000000033DC: 82111180
	s_mov_b32 s57, 0x100                                       // 0000000033E0: BEB900FF 00000100
	s_mov_b32 s58, 0x1000                                      // 0000000033E8: BEBA00FF 00001000
	s_mov_b32 s79, 0x400                                       // 0000000033F0: BECF00FF 00000400
	s_mov_b32 s59, 0x200                                       // 0000000033F8: BEBB00FF 00000200
	s_mul_i32 s60, s70, 0x100                                  // 000000003400: 923CFF46 00000100
	s_mov_b32 s78, 0x400                                       // 000000003408: BECE00FF 00000400
	s_mul_i32 s61, s78, 3                                      // 000000003410: 923D834E
	s_sub_u32 s56, s60, s61                                    // 000000003414: 80B83D3C
	s_mov_b32 s52, 0x7060302                                   // 000000003418: BEB400FF 07060302
	s_mov_b32 s53, 0x400                                       // 000000003420: BEB500FF 00000400
	s_mov_b32 s54, 0x40100                                     // 000000003428: BEB600FF 00040100
	s_mov_b32 s55, 0x4020100                                   // 000000003430: BEB700FF 04020100
	s_mov_b32 s6, 0x3fb8aa3b                                   // 000000003438: BE8600FF 3FB8AA3B
	s_mov_b32 s77, 0xbd92220c                                  // 000000003440: BECD00FF BD92220C
	s_mov_b32 m0, s50                                          // 000000003448: BEFC0032
	v_mov_b32_e32 v1, 0xbfcc4231                               // 00000000344C: 7E0202FF BFCC4231
	v_mov_b32_e32 v41, 0xffff0000                              // 000000003454: 7E5202FF FFFF0000
	v_mov_b32_e32 v42, 0x7fff0000                              // 00000000345C: 7E5402FF 7FFF0000
	v_mov_b32_e32 v43, 0x7fff                                  // 000000003464: 7E5602FF 00007FFF
	s_waitcnt vmcnt(0) expcnt(0) lgkmcnt(0)                    // 00000000346C: BF8C0000
	v_lshrrev_b32_e32 v44, 24, v6                              // 000000003470: 20580C98
	v_mul_i32_i24_e32 v44, s66, v44                            // 000000003474: 0C585842
	v_and_b32_e32 v45, 0xffffff, v6                            // 000000003478: 265A0CFF 00FFFFFF
	v_add_u32_e32 v6, v44, v45                                 // 000000003480: 680C5B2C
	v_lshrrev_b32_e32 v44, 24, v7                              // 000000003484: 20580E98
	v_mul_i32_i24_e32 v44, s66, v44                            // 000000003488: 0C585842
	v_and_b32_e32 v45, 0xffffff, v7                            // 00000000348C: 265A0EFF 00FFFFFF
	v_add_u32_e32 v7, v44, v45                                 // 000000003494: 680E5B2C
	v_lshlrev_b32_e32 v6, 2, v6                                // 000000003498: 240C0C82
	v_lshlrev_b32_e32 v7, 2, v7                                // 00000000349C: 240E0E82
	buffer_load_dword v13, v6, s[28:31], 0 offen               // 0000000034A0: E0501000 80070D06
	buffer_load_dword v14, v7, s[28:31], 0 offen               // 0000000034A8: E0501000 80070E07
	buffer_load_dword v15, v10, s[32:35], 0 offen              // 0000000034B0: E0501000 80080F0A
	buffer_load_dword v16, v11, s[32:35], 0 offen              // 0000000034B8: E0501000 8008100B
	buffer_load_dword v16, v10, s[36:39], 0 offen              // 0000000034C0: E0501000 8009100A
	buffer_load_dword v17, v11, s[36:39], 0 offen              // 0000000034C8: E0501000 8009110B
	buffer_load_dword v17, v8, s[40:43], 0 offen               // 0000000034D0: E0501000 800A1108
	buffer_load_dword v18, v9, s[40:43], 0 offen               // 0000000034D8: E0501000 800A1209
	buffer_load_dword v24, s[20:23], 0 offen lds               // 0000000034E0: E0511000 80050018
	s_add_u32 m0, 0x100, s50                                   // 0000000034E8: 807C32FF 00000100
	buffer_load_dword v25, s[20:23], 0 offen lds               // 0000000034F0: E0511000 80050019
	s_add_u32 m0, 0x200, s50                                   // 0000000034F8: 807C32FF 00000200
	buffer_load_dword v26, s[20:23], 0 offen lds               // 000000003500: E0511000 8005001A
	s_add_u32 m0, 0x300, s50                                   // 000000003508: 807C32FF 00000300
	buffer_load_dword v27, s[20:23], 0 offen lds               // 000000003510: E0511000 8005001B
	s_add_u32 m0, 0x400, s50                                   // 000000003518: 807C32FF 00000400
	buffer_load_dword v28, s[20:23], 0 offen lds               // 000000003520: E0511000 8005001C
	s_add_u32 m0, 0x500, s50                                   // 000000003528: 807C32FF 00000500
	buffer_load_dword v29, s[20:23], 0 offen lds               // 000000003530: E0511000 8005001D
	s_add_u32 m0, 0x600, s50                                   // 000000003538: 807C32FF 00000600
	buffer_load_dword v30, s[20:23], 0 offen lds               // 000000003540: E0511000 8005001E
	s_add_u32 m0, 0x700, s50                                   // 000000003548: 807C32FF 00000700
	buffer_load_dword v31, s[20:23], 0 offen lds               // 000000003550: E0511000 8005001F
	s_add_u32 m0, 0, s51                                       // 000000003558: 807C3380
	s_add_u32 s20, s57, s20                                    // 00000000355C: 80141439
	s_addc_u32 s21, 0, s21                                     // 000000003560: 82151580
	buffer_load_dword v24, s[20:23], 0 offen lds               // 000000003564: E0511000 80050018
	s_add_u32 m0, 0x100, s51                                   // 00000000356C: 807C33FF 00000100
	buffer_load_dword v25, s[20:23], 0 offen lds               // 000000003574: E0511000 80050019
	s_add_u32 m0, 0x200, s51                                   // 00000000357C: 807C33FF 00000200
	buffer_load_dword v26, s[20:23], 0 offen lds               // 000000003584: E0511000 8005001A
	s_add_u32 m0, 0x300, s51                                   // 00000000358C: 807C33FF 00000300
	buffer_load_dword v27, s[20:23], 0 offen lds               // 000000003594: E0511000 8005001B
	s_add_u32 m0, 0x400, s51                                   // 00000000359C: 807C33FF 00000400
	buffer_load_dword v28, s[20:23], 0 offen lds               // 0000000035A4: E0511000 8005001C
	s_add_u32 m0, 0x500, s51                                   // 0000000035AC: 807C33FF 00000500
	buffer_load_dword v29, s[20:23], 0 offen lds               // 0000000035B4: E0511000 8005001D
	s_add_u32 m0, 0x600, s51                                   // 0000000035BC: 807C33FF 00000600
	buffer_load_dword v30, s[20:23], 0 offen lds               // 0000000035C4: E0511000 8005001E
	s_add_u32 m0, 0x700, s51                                   // 0000000035CC: 807C33FF 00000700
	buffer_load_dword v31, s[20:23], 0 offen lds               // 0000000035D4: E0511000 8005001F
	s_add_u32 m0, 0, s50                                       // 0000000035DC: 807C3280
	s_add_u32 s20, s57, s20                                    // 0000000035E0: 80141439
	s_addc_u32 s21, 0, s21                                     // 0000000035E4: 82151580
	buffer_load_dwordx4 a[0:3], v32, s[24:27], 0 offen         // 0000000035E8: E05C1000 80860020
	buffer_load_dwordx4 a[4:7], v32, s[24:27], 0 offen offset:1024// 0000000035F0: E05C1400 80860420
	buffer_load_dwordx4 a[8:11], v32, s[24:27], 0 offen offset:2048// 0000000035F8: E05C1800 80860820
	buffer_load_dwordx4 a[12:15], v32, s[24:27], 0 offen offset:3072// 000000003600: E05C1C00 80860C20
	buffer_load_dwordx4 a[16:19], v33, s[24:27], 0 offen       // 000000003608: E05C1000 80861021
	buffer_load_dwordx4 a[20:23], v33, s[24:27], 0 offen offset:1024// 000000003610: E05C1400 80861421
	buffer_load_dwordx4 a[24:27], v33, s[24:27], 0 offen offset:2048// 000000003618: E05C1800 80861821
	buffer_load_dwordx4 a[28:31], v33, s[24:27], 0 offen offset:3072// 000000003620: E05C1C00 80861C21
	buffer_load_dwordx4 a[32:35], v34, s[24:27], 0 offen       // 000000003628: E05C1000 80862022
	buffer_load_dwordx4 a[36:39], v34, s[24:27], 0 offen offset:1024// 000000003630: E05C1400 80862422
	buffer_load_dwordx4 a[40:43], v34, s[24:27], 0 offen offset:2048// 000000003638: E05C1800 80862822
	buffer_load_dwordx4 a[44:47], v34, s[24:27], 0 offen offset:3072// 000000003640: E05C1C00 80862C22
	buffer_load_dwordx4 a[48:51], v35, s[24:27], 0 offen       // 000000003648: E05C1000 80863023
	buffer_load_dwordx4 a[52:55], v35, s[24:27], 0 offen offset:1024// 000000003650: E05C1400 80863423
	buffer_load_dwordx4 a[56:59], v35, s[24:27], 0 offen offset:2048// 000000003658: E05C1800 80863823
	buffer_load_dwordx4 a[60:63], v35, s[24:27], 0 offen offset:3072// 000000003660: E05C1C00 80863C23
	s_add_u32 s24, s58, s24                                    // 000000003668: 8018183A
	s_addc_u32 s25, 0, s25                                     // 00000000366C: 82191980
	v_mov_b32_e32 v128, 0                                      // 000000003670: 7F000280
	v_mov_b32_e32 v129, 0                                      // 000000003674: 7F020280
	v_mov_b32_e32 v130, 0                                      // 000000003678: 7F040280
	v_mov_b32_e32 v131, 0                                      // 00000000367C: 7F060280
	v_mov_b32_e32 v132, 0                                      // 000000003680: 7F080280
	v_mov_b32_e32 v133, 0                                      // 000000003684: 7F0A0280
	v_mov_b32_e32 v134, 0                                      // 000000003688: 7F0C0280
	v_mov_b32_e32 v135, 0                                      // 00000000368C: 7F0E0280
	v_mov_b32_e32 v136, 0                                      // 000000003690: 7F100280
	v_mov_b32_e32 v137, 0                                      // 000000003694: 7F120280
	v_mov_b32_e32 v138, 0                                      // 000000003698: 7F140280
	v_mov_b32_e32 v139, 0                                      // 00000000369C: 7F160280
	v_mov_b32_e32 v140, 0                                      // 0000000036A0: 7F180280
	v_mov_b32_e32 v141, 0                                      // 0000000036A4: 7F1A0280
	v_mov_b32_e32 v142, 0                                      // 0000000036A8: 7F1C0280
	v_mov_b32_e32 v143, 0                                      // 0000000036AC: 7F1E0280
	v_mov_b32_e32 v144, 0                                      // 0000000036B0: 7F200280
	v_mov_b32_e32 v145, 0                                      // 0000000036B4: 7F220280
	v_mov_b32_e32 v146, 0                                      // 0000000036B8: 7F240280
	v_mov_b32_e32 v147, 0                                      // 0000000036BC: 7F260280
	v_mov_b32_e32 v148, 0                                      // 0000000036C0: 7F280280
	v_mov_b32_e32 v149, 0                                      // 0000000036C4: 7F2A0280
	v_mov_b32_e32 v150, 0                                      // 0000000036C8: 7F2C0280
	v_mov_b32_e32 v151, 0                                      // 0000000036CC: 7F2E0280
	v_mov_b32_e32 v152, 0                                      // 0000000036D0: 7F300280
	v_mov_b32_e32 v153, 0                                      // 0000000036D4: 7F320280
	v_mov_b32_e32 v154, 0                                      // 0000000036D8: 7F340280
	v_mov_b32_e32 v155, 0                                      // 0000000036DC: 7F360280
	v_mov_b32_e32 v156, 0                                      // 0000000036E0: 7F380280
	v_mov_b32_e32 v157, 0                                      // 0000000036E4: 7F3A0280
	v_mov_b32_e32 v158, 0                                      // 0000000036E8: 7F3C0280
	v_mov_b32_e32 v159, 0                                      // 0000000036EC: 7F3E0280
	v_lshrrev_b32_e32 v44, 4, v0                               // 0000000036F0: 20580084
	v_mul_i32_i24_e32 v3, 34, v44                              // 0000000036F4: 0C0658A2
	v_and_b32_e32 v44, 15, v0                                  // 0000000036F8: 2658008F
	v_mul_i32_i24_e32 v45, 2, v44                              // 0000000036FC: 0C5A5882
	v_add_u32_e32 v3, v45, v3                                  // 000000003700: 6806072D
	s_mul_i32 s60, s7, 0x88                                    // 000000003704: 923CFF07 00000088
	v_add_u32_e32 v3, s60, v3                                  // 00000000370C: 6806063C
	v_lshlrev_b32_e32 v3, 2, v3                                // 000000003710: 24060682
	v_lshrrev_b32_e32 v44, 1, v0                               // 000000003714: 20580081
	v_mul_i32_i24_e32 v4, 34, v44                              // 000000003718: 0C0858A2
	v_and_b32_e32 v45, 1, v0                                   // 00000000371C: 265A0081
	v_add_u32_e32 v4, v45, v4                                  // 000000003720: 6808092D
	s_mul_i32 s60, s7, 2                                       // 000000003724: 923C8207
	v_add_u32_e32 v4, s60, v4                                  // 000000003728: 6808083C
	v_lshlrev_b32_e32 v4, 2, v4                                // 00000000372C: 24080882
	s_waitcnt vmcnt(24)                                        // 000000003730: BF8C4F78
	s_barrier                                                  // 000000003734: BF8A0000
	ds_read_b128 v[160:163], v2                                // 000000003738: D9FE0000 A0000002
	ds_read_b128 v[164:167], v2 offset:64                      // 000000003740: D9FE0040 A4000002
	ds_read_b128 v[168:171], v2 offset:128                     // 000000003748: D9FE0080 A8000002
	ds_read_b128 v[172:175], v2 offset:192                     // 000000003750: D9FE00C0 AC000002
	ds_read_b128 v[176:179], v2 offset:1024                    // 000000003758: D9FE0400 B0000002
	ds_read_b128 v[180:183], v2 offset:1088                    // 000000003760: D9FE0440 B4000002
	ds_read_b128 v[184:187], v2 offset:1152                    // 000000003768: D9FE0480 B8000002
	ds_read_b128 v[188:191], v2 offset:1216                    // 000000003770: D9FE04C0 BC000002
	s_cmp_lt_i32 s7, 2                                         // 000000003778: BF048207
	s_cbranch_scc0 label_0B18                                  // 00000000377C: BF8408B8

0000000000003780 <label_0260>:
	s_waitcnt vmcnt(8) lgkmcnt(0)                              // 000000003780: BF8C0078
	s_barrier                                                  // 000000003784: BF8A0000
	v_mfma_i32_16x16x32_i8 v[128:131], a[0:1], v[160:161], v[128:131]// 000000003788: D3D70080 0E034100
	v_mfma_i32_16x16x32_i8 v[128:131], a[2:3], v[162:163], v[128:131]// 000000003790: D3D70080 0E034502
	buffer_load_dwordx4 a[64:67], v32, s[24:27], 0 offen       // 000000003798: E05C1000 80864020
	v_mfma_i32_16x16x32_i8 v[128:131], a[4:5], v[164:165], v[128:131]// 0000000037A0: D3D70080 0E034904
	v_mfma_i32_16x16x32_i8 v[128:131], a[6:7], v[166:167], v[128:131]// 0000000037A8: D3D70080 0E034D06
	buffer_load_dword v24, s[20:23], 0 offen lds               // 0000000037B0: E0511000 80050018
	s_add_u32 m0, 0x100, s50                                   // 0000000037B8: 807C32FF 00000100
	v_mfma_i32_16x16x32_i8 v[128:131], a[8:9], v[168:169], v[128:131]// 0000000037C0: D3D70080 0E035108
	v_mfma_i32_16x16x32_i8 v[128:131], a[10:11], v[170:171], v[128:131]// 0000000037C8: D3D70080 0E03550A
	buffer_load_dwordx4 a[68:71], v32, s[24:27], 0 offen offset:1024// 0000000037D0: E05C1400 80864420
	v_mfma_i32_16x16x32_i8 v[128:131], a[12:13], v[172:173], v[128:131]// 0000000037D8: D3D70080 0E03590C
	v_mfma_i32_16x16x32_i8 v[128:131], a[14:15], v[174:175], v[128:131]// 0000000037E0: D3D70080 0E035D0E
	buffer_load_dword v25, s[20:23], 0 offen lds               // 0000000037E8: E0511000 80050019
	s_add_u32 m0, 0x200, s50                                   // 0000000037F0: 807C32FF 00000200
	v_mfma_i32_16x16x32_i8 v[132:135], a[0:1], v[176:177], v[132:135]// 0000000037F8: D3D70084 0E136100
	v_mfma_i32_16x16x32_i8 v[132:135], a[2:3], v[178:179], v[132:135]// 000000003800: D3D70084 0E136502
	buffer_load_dwordx4 a[72:75], v32, s[24:27], 0 offen offset:2048// 000000003808: E05C1800 80864820
	v_mfma_i32_16x16x32_i8 v[132:135], a[4:5], v[180:181], v[132:135]// 000000003810: D3D70084 0E136904
	v_mfma_i32_16x16x32_i8 v[132:135], a[6:7], v[182:183], v[132:135]// 000000003818: D3D70084 0E136D06
	buffer_load_dword v26, s[20:23], 0 offen lds               // 000000003820: E0511000 8005001A
	s_add_u32 m0, 0x300, s50                                   // 000000003828: 807C32FF 00000300
	v_mfma_i32_16x16x32_i8 v[132:135], a[8:9], v[184:185], v[132:135]// 000000003830: D3D70084 0E137108
	v_mfma_i32_16x16x32_i8 v[132:135], a[10:11], v[186:187], v[132:135]// 000000003838: D3D70084 0E13750A
	buffer_load_dwordx4 a[76:79], v32, s[24:27], 0 offen offset:3072// 000000003840: E05C1C00 80864C20
	v_mfma_i32_16x16x32_i8 v[132:135], a[12:13], v[188:189], v[132:135]// 000000003848: D3D70084 0E13790C
	v_mfma_i32_16x16x32_i8 v[132:135], a[14:15], v[190:191], v[132:135]// 000000003850: D3D70084 0E137D0E
	buffer_load_dword v27, s[20:23], 0 offen lds               // 000000003858: E0511000 8005001B
	s_add_u32 m0, 0x400, s50                                   // 000000003860: 807C32FF 00000400
	v_mfma_i32_16x16x32_i8 v[136:139], a[16:17], v[160:161], v[136:139]// 000000003868: D3D70088 0E234110
	v_mfma_i32_16x16x32_i8 v[136:139], a[18:19], v[162:163], v[136:139]// 000000003870: D3D70088 0E234512
	buffer_load_dwordx4 a[80:83], v33, s[24:27], 0 offen       // 000000003878: E05C1000 80865021
	v_mfma_i32_16x16x32_i8 v[136:139], a[20:21], v[164:165], v[136:139]// 000000003880: D3D70088 0E234914
	v_mfma_i32_16x16x32_i8 v[136:139], a[22:23], v[166:167], v[136:139]// 000000003888: D3D70088 0E234D16
	buffer_load_dword v28, s[20:23], 0 offen lds               // 000000003890: E0511000 8005001C
	s_add_u32 m0, 0x500, s50                                   // 000000003898: 807C32FF 00000500
	v_mfma_i32_16x16x32_i8 v[136:139], a[24:25], v[168:169], v[136:139]// 0000000038A0: D3D70088 0E235118
	v_mfma_i32_16x16x32_i8 v[136:139], a[26:27], v[170:171], v[136:139]// 0000000038A8: D3D70088 0E23551A
	buffer_load_dwordx4 a[84:87], v33, s[24:27], 0 offen offset:1024// 0000000038B0: E05C1400 80865421
	v_mfma_i32_16x16x32_i8 v[136:139], a[28:29], v[172:173], v[136:139]// 0000000038B8: D3D70088 0E23591C
	v_mfma_i32_16x16x32_i8 v[136:139], a[30:31], v[174:175], v[136:139]// 0000000038C0: D3D70088 0E235D1E
	buffer_load_dword v29, s[20:23], 0 offen lds               // 0000000038C8: E0511000 8005001D
	s_add_u32 m0, 0x600, s50                                   // 0000000038D0: 807C32FF 00000600
	v_mfma_i32_16x16x32_i8 v[140:143], a[16:17], v[176:177], v[140:143]// 0000000038D8: D3D7008C 0E336110
	v_mfma_i32_16x16x32_i8 v[140:143], a[18:19], v[178:179], v[140:143]// 0000000038E0: D3D7008C 0E336512
	buffer_load_dwordx4 a[88:91], v33, s[24:27], 0 offen offset:2048// 0000000038E8: E05C1800 80865821
	v_mfma_i32_16x16x32_i8 v[140:143], a[20:21], v[180:181], v[140:143]// 0000000038F0: D3D7008C 0E336914
	v_mfma_i32_16x16x32_i8 v[140:143], a[22:23], v[182:183], v[140:143]// 0000000038F8: D3D7008C 0E336D16
	buffer_load_dword v30, s[20:23], 0 offen lds               // 000000003900: E0511000 8005001E
	s_add_u32 m0, 0x700, s50                                   // 000000003908: 807C32FF 00000700
	v_mfma_i32_16x16x32_i8 v[140:143], a[24:25], v[184:185], v[140:143]// 000000003910: D3D7008C 0E337118
	v_mfma_i32_16x16x32_i8 v[140:143], a[26:27], v[186:187], v[140:143]// 000000003918: D3D7008C 0E33751A
	buffer_load_dwordx4 a[92:95], v33, s[24:27], 0 offen offset:3072// 000000003920: E05C1C00 80865C21
	v_mfma_i32_16x16x32_i8 v[140:143], a[28:29], v[188:189], v[140:143]// 000000003928: D3D7008C 0E33791C
	v_mfma_i32_16x16x32_i8 v[140:143], a[30:31], v[190:191], v[140:143]// 000000003930: D3D7008C 0E337D1E
	buffer_load_dword v31, s[20:23], 0 offen lds               // 000000003938: E0511000 8005001F
	s_add_u32 m0, 0, s51                                       // 000000003940: 807C3380
	s_waitcnt vmcnt(20)                                        // 000000003944: BF8C4F74
	v_mfma_i32_16x16x32_i8 v[144:147], a[32:33], v[160:161], v[144:147]// 000000003948: D3D70090 0E434120
	v_mfma_i32_16x16x32_i8 v[144:147], a[34:35], v[162:163], v[144:147]// 000000003950: D3D70090 0E434522
	buffer_load_dwordx4 a[96:99], v34, s[24:27], 0 offen       // 000000003958: E05C1000 80866022
	v_mfma_i32_16x16x32_i8 v[144:147], a[36:37], v[164:165], v[144:147]// 000000003960: D3D70090 0E434924
	v_mfma_i32_16x16x32_i8 v[144:147], a[38:39], v[166:167], v[144:147]// 000000003968: D3D70090 0E434D26
	ds_read_b128 v[192:195], v2 offset:8320                    // 000000003970: D9FE2080 C0000002
	v_mfma_i32_16x16x32_i8 v[144:147], a[40:41], v[168:169], v[144:147]// 000000003978: D3D70090 0E435128
	v_mfma_i32_16x16x32_i8 v[144:147], a[42:43], v[170:171], v[144:147]// 000000003980: D3D70090 0E43552A
	buffer_load_dwordx4 a[100:103], v34, s[24:27], 0 offen offset:1024// 000000003988: E05C1400 80866422
	v_mfma_i32_16x16x32_i8 v[144:147], a[44:45], v[172:173], v[144:147]// 000000003990: D3D70090 0E43592C
	v_mfma_i32_16x16x32_i8 v[144:147], a[46:47], v[174:175], v[144:147]// 000000003998: D3D70090 0E435D2E
	ds_read_b128 v[196:199], v2 offset:8384                    // 0000000039A0: D9FE20C0 C4000002
	v_mfma_i32_16x16x32_i8 v[148:151], a[32:33], v[176:177], v[148:151]// 0000000039A8: D3D70094 0E536120
	v_mfma_i32_16x16x32_i8 v[148:151], a[34:35], v[178:179], v[148:151]// 0000000039B0: D3D70094 0E536522
	buffer_load_dwordx4 a[104:107], v34, s[24:27], 0 offen offset:2048// 0000000039B8: E05C1800 80866822
	v_mfma_i32_16x16x32_i8 v[148:151], a[36:37], v[180:181], v[148:151]// 0000000039C0: D3D70094 0E536924
	v_mfma_i32_16x16x32_i8 v[148:151], a[38:39], v[182:183], v[148:151]// 0000000039C8: D3D70094 0E536D26
	ds_read_b128 v[200:203], v2 offset:8448                    // 0000000039D0: D9FE2100 C8000002
	v_mfma_i32_16x16x32_i8 v[148:151], a[40:41], v[184:185], v[148:151]// 0000000039D8: D3D70094 0E537128
	v_mfma_i32_16x16x32_i8 v[148:151], a[42:43], v[186:187], v[148:151]// 0000000039E0: D3D70094 0E53752A
	buffer_load_dwordx4 a[108:111], v34, s[24:27], 0 offen offset:3072// 0000000039E8: E05C1C00 80866C22
	v_mfma_i32_16x16x32_i8 v[148:151], a[44:45], v[188:189], v[148:151]// 0000000039F0: D3D70094 0E53792C
	v_mfma_i32_16x16x32_i8 v[148:151], a[46:47], v[190:191], v[148:151]// 0000000039F8: D3D70094 0E537D2E
	ds_read_b128 v[204:207], v2 offset:8512                    // 000000003A00: D9FE2140 CC000002
	s_waitcnt vmcnt(20)                                        // 000000003A08: BF8C4F74
	v_mfma_i32_16x16x32_i8 v[152:155], a[48:49], v[160:161], v[152:155]// 000000003A0C: D3D70098 0E634130
	v_mfma_i32_16x16x32_i8 v[152:155], a[50:51], v[162:163], v[152:155]// 000000003A14: D3D70098 0E634532
	buffer_load_dwordx4 a[112:115], v35, s[24:27], 0 offen     // 000000003A1C: E05C1000 80867023
	v_mfma_i32_16x16x32_i8 v[152:155], a[52:53], v[164:165], v[152:155]// 000000003A24: D3D70098 0E634934
	v_mfma_i32_16x16x32_i8 v[152:155], a[54:55], v[166:167], v[152:155]// 000000003A2C: D3D70098 0E634D36
	ds_read_b128 v[208:211], v2 offset:9344                    // 000000003A34: D9FE2480 D0000002
	v_mfma_i32_16x16x32_i8 v[152:155], a[56:57], v[168:169], v[152:155]// 000000003A3C: D3D70098 0E635138
	v_mfma_i32_16x16x32_i8 v[152:155], a[58:59], v[170:171], v[152:155]// 000000003A44: D3D70098 0E63553A
	buffer_load_dwordx4 a[116:119], v35, s[24:27], 0 offen offset:1024// 000000003A4C: E05C1400 80867423
	v_mfma_i32_16x16x32_i8 v[152:155], a[60:61], v[172:173], v[152:155]// 000000003A54: D3D70098 0E63593C
	v_mfma_i32_16x16x32_i8 v[152:155], a[62:63], v[174:175], v[152:155]// 000000003A5C: D3D70098 0E635D3E
	ds_read_b128 v[212:215], v2 offset:9408                    // 000000003A64: D9FE24C0 D4000002
	v_mfma_i32_16x16x32_i8 v[156:159], a[48:49], v[176:177], v[156:159]// 000000003A6C: D3D7009C 0E736130
	v_mfma_i32_16x16x32_i8 v[156:159], a[50:51], v[178:179], v[156:159]// 000000003A74: D3D7009C 0E736532
	buffer_load_dwordx4 a[120:123], v35, s[24:27], 0 offen offset:2048// 000000003A7C: E05C1800 80867823
	v_mfma_i32_16x16x32_i8 v[156:159], a[52:53], v[180:181], v[156:159]// 000000003A84: D3D7009C 0E736934
	v_mfma_i32_16x16x32_i8 v[156:159], a[54:55], v[182:183], v[156:159]// 000000003A8C: D3D7009C 0E736D36
	ds_read_b128 v[216:219], v2 offset:9472                    // 000000003A94: D9FE2500 D8000002
	v_mfma_i32_16x16x32_i8 v[156:159], a[56:57], v[184:185], v[156:159]// 000000003A9C: D3D7009C 0E737138
	v_mfma_i32_16x16x32_i8 v[156:159], a[58:59], v[186:187], v[156:159]// 000000003AA4: D3D7009C 0E73753A
	buffer_load_dwordx4 a[124:127], v35, s[24:27], 0 offen offset:3072// 000000003AAC: E05C1C00 80867C23
	v_mfma_i32_16x16x32_i8 v[156:159], a[60:61], v[188:189], v[156:159]// 000000003AB4: D3D7009C 0E73793C
	v_mfma_i32_16x16x32_i8 v[156:159], a[62:63], v[190:191], v[156:159]// 000000003ABC: D3D7009C 0E737D3E
	ds_read_b128 v[220:223], v2 offset:9536                    // 000000003AC4: D9FE2540 DC000002
	s_add_u32 s60, 0x300, s80                                  // 000000003ACC: 803C50FF 00000300
	s_cmp_lt_u32 s60, s81                                      // 000000003AD4: BF0A513C
	s_cselect_b32 s57, s57, 0                                  // 000000003AD8: 85398039
	s_add_u32 s60, 0x200, s80                                  // 000000003ADC: 803C50FF 00000200
	s_cmp_lt_u32 s60, s81                                      // 000000003AE4: BF0A513C
	s_cselect_b32 s58, s58, 0                                  // 000000003AE8: 853A803A
	s_add_u32 s20, s57, s20                                    // 000000003AEC: 80141439
	s_addc_u32 s21, 0, s21                                     // 000000003AF0: 82151580
	s_add_u32 s24, s58, s24                                    // 000000003AF4: 8018183A
	s_addc_u32 s25, 0, s25                                     // 000000003AF8: 82191980
	s_addk_i32 s80, 0x100                                      // 000000003AFC: B7500100
	s_cmp_lt_i32 s80, s81                                      // 000000003B00: BF045150
	s_cbranch_scc0 label_0425                                  // 000000003B04: BF8400E3
	s_waitcnt vmcnt(8) lgkmcnt(0)                              // 000000003B08: BF8C0078
	s_barrier                                                  // 000000003B0C: BF8A0000
	v_mfma_i32_16x16x32_i8 v[128:131], a[64:65], v[192:193], v[128:131]// 000000003B10: D3D70080 0E038140
	v_mfma_i32_16x16x32_i8 v[128:131], a[66:67], v[194:195], v[128:131]// 000000003B18: D3D70080 0E038542
	buffer_load_dwordx4 a[0:3], v32, s[24:27], 0 offen         // 000000003B20: E05C1000 80860020
	v_mfma_i32_16x16x32_i8 v[128:131], a[68:69], v[196:197], v[128:131]// 000000003B28: D3D70080 0E038944
	v_mfma_i32_16x16x32_i8 v[128:131], a[70:71], v[198:199], v[128:131]// 000000003B30: D3D70080 0E038D46
	buffer_load_dword v24, s[20:23], 0 offen lds               // 000000003B38: E0511000 80050018
	s_add_u32 m0, 0x100, s51                                   // 000000003B40: 807C33FF 00000100
	v_mfma_i32_16x16x32_i8 v[128:131], a[72:73], v[200:201], v[128:131]// 000000003B48: D3D70080 0E039148
	v_mfma_i32_16x16x32_i8 v[128:131], a[74:75], v[202:203], v[128:131]// 000000003B50: D3D70080 0E03954A
	buffer_load_dwordx4 a[4:7], v32, s[24:27], 0 offen offset:1024// 000000003B58: E05C1400 80860420
	v_mfma_i32_16x16x32_i8 v[128:131], a[76:77], v[204:205], v[128:131]// 000000003B60: D3D70080 0E03994C
	v_mfma_i32_16x16x32_i8 v[128:131], a[78:79], v[206:207], v[128:131]// 000000003B68: D3D70080 0E039D4E
	buffer_load_dword v25, s[20:23], 0 offen lds               // 000000003B70: E0511000 80050019
	s_add_u32 m0, 0x200, s51                                   // 000000003B78: 807C33FF 00000200
	v_mfma_i32_16x16x32_i8 v[132:135], a[64:65], v[208:209], v[132:135]// 000000003B80: D3D70084 0E13A140
	v_mfma_i32_16x16x32_i8 v[132:135], a[66:67], v[210:211], v[132:135]// 000000003B88: D3D70084 0E13A542
	buffer_load_dwordx4 a[8:11], v32, s[24:27], 0 offen offset:2048// 000000003B90: E05C1800 80860820
	v_mfma_i32_16x16x32_i8 v[132:135], a[68:69], v[212:213], v[132:135]// 000000003B98: D3D70084 0E13A944
	v_mfma_i32_16x16x32_i8 v[132:135], a[70:71], v[214:215], v[132:135]// 000000003BA0: D3D70084 0E13AD46
	buffer_load_dword v26, s[20:23], 0 offen lds               // 000000003BA8: E0511000 8005001A
	s_add_u32 m0, 0x300, s51                                   // 000000003BB0: 807C33FF 00000300
	v_mfma_i32_16x16x32_i8 v[132:135], a[72:73], v[216:217], v[132:135]// 000000003BB8: D3D70084 0E13B148
	v_mfma_i32_16x16x32_i8 v[132:135], a[74:75], v[218:219], v[132:135]// 000000003BC0: D3D70084 0E13B54A
	buffer_load_dwordx4 a[12:15], v32, s[24:27], 0 offen offset:3072// 000000003BC8: E05C1C00 80860C20
	v_mfma_i32_16x16x32_i8 v[132:135], a[76:77], v[220:221], v[132:135]// 000000003BD0: D3D70084 0E13B94C
	v_mfma_i32_16x16x32_i8 v[132:135], a[78:79], v[222:223], v[132:135]// 000000003BD8: D3D70084 0E13BD4E
	buffer_load_dword v27, s[20:23], 0 offen lds               // 000000003BE0: E0511000 8005001B
	s_add_u32 m0, 0x400, s51                                   // 000000003BE8: 807C33FF 00000400
	v_mfma_i32_16x16x32_i8 v[136:139], a[80:81], v[192:193], v[136:139]// 000000003BF0: D3D70088 0E238150
	v_mfma_i32_16x16x32_i8 v[136:139], a[82:83], v[194:195], v[136:139]// 000000003BF8: D3D70088 0E238552
	buffer_load_dwordx4 a[16:19], v33, s[24:27], 0 offen       // 000000003C00: E05C1000 80861021
	v_mfma_i32_16x16x32_i8 v[136:139], a[84:85], v[196:197], v[136:139]// 000000003C08: D3D70088 0E238954
	v_mfma_i32_16x16x32_i8 v[136:139], a[86:87], v[198:199], v[136:139]// 000000003C10: D3D70088 0E238D56
	buffer_load_dword v28, s[20:23], 0 offen lds               // 000000003C18: E0511000 8005001C
	s_add_u32 m0, 0x500, s51                                   // 000000003C20: 807C33FF 00000500
	v_mfma_i32_16x16x32_i8 v[136:139], a[88:89], v[200:201], v[136:139]// 000000003C28: D3D70088 0E239158
	v_mfma_i32_16x16x32_i8 v[136:139], a[90:91], v[202:203], v[136:139]// 000000003C30: D3D70088 0E23955A
	buffer_load_dwordx4 a[20:23], v33, s[24:27], 0 offen offset:1024// 000000003C38: E05C1400 80861421
	v_mfma_i32_16x16x32_i8 v[136:139], a[92:93], v[204:205], v[136:139]// 000000003C40: D3D70088 0E23995C
	v_mfma_i32_16x16x32_i8 v[136:139], a[94:95], v[206:207], v[136:139]// 000000003C48: D3D70088 0E239D5E
	buffer_load_dword v29, s[20:23], 0 offen lds               // 000000003C50: E0511000 8005001D
	s_add_u32 m0, 0x600, s51                                   // 000000003C58: 807C33FF 00000600
	v_mfma_i32_16x16x32_i8 v[140:143], a[80:81], v[208:209], v[140:143]// 000000003C60: D3D7008C 0E33A150
	v_mfma_i32_16x16x32_i8 v[140:143], a[82:83], v[210:211], v[140:143]// 000000003C68: D3D7008C 0E33A552
	buffer_load_dwordx4 a[24:27], v33, s[24:27], 0 offen offset:2048// 000000003C70: E05C1800 80861821
	v_mfma_i32_16x16x32_i8 v[140:143], a[84:85], v[212:213], v[140:143]// 000000003C78: D3D7008C 0E33A954
	v_mfma_i32_16x16x32_i8 v[140:143], a[86:87], v[214:215], v[140:143]// 000000003C80: D3D7008C 0E33AD56
	buffer_load_dword v30, s[20:23], 0 offen lds               // 000000003C88: E0511000 8005001E
	s_add_u32 m0, 0x700, s51                                   // 000000003C90: 807C33FF 00000700
	v_mfma_i32_16x16x32_i8 v[140:143], a[88:89], v[216:217], v[140:143]// 000000003C98: D3D7008C 0E33B158
	v_mfma_i32_16x16x32_i8 v[140:143], a[90:91], v[218:219], v[140:143]// 000000003CA0: D3D7008C 0E33B55A
	buffer_load_dwordx4 a[28:31], v33, s[24:27], 0 offen offset:3072// 000000003CA8: E05C1C00 80861C21
	v_mfma_i32_16x16x32_i8 v[140:143], a[92:93], v[220:221], v[140:143]// 000000003CB0: D3D7008C 0E33B95C
	v_mfma_i32_16x16x32_i8 v[140:143], a[94:95], v[222:223], v[140:143]// 000000003CB8: D3D7008C 0E33BD5E
	buffer_load_dword v31, s[20:23], 0 offen lds               // 000000003CC0: E0511000 8005001F
	s_add_u32 m0, 0, s50                                       // 000000003CC8: 807C3280
	s_waitcnt vmcnt(20)                                        // 000000003CCC: BF8C4F74
	v_mfma_i32_16x16x32_i8 v[144:147], a[96:97], v[192:193], v[144:147]// 000000003CD0: D3D70090 0E438160
	v_mfma_i32_16x16x32_i8 v[144:147], a[98:99], v[194:195], v[144:147]// 000000003CD8: D3D70090 0E438562
	buffer_load_dwordx4 a[32:35], v34, s[24:27], 0 offen       // 000000003CE0: E05C1000 80862022
	v_mfma_i32_16x16x32_i8 v[144:147], a[100:101], v[196:197], v[144:147]// 000000003CE8: D3D70090 0E438964
	v_mfma_i32_16x16x32_i8 v[144:147], a[102:103], v[198:199], v[144:147]// 000000003CF0: D3D70090 0E438D66
	ds_read_b128 v[160:163], v2                                // 000000003CF8: D9FE0000 A0000002
	v_mfma_i32_16x16x32_i8 v[144:147], a[104:105], v[200:201], v[144:147]// 000000003D00: D3D70090 0E439168
	v_mfma_i32_16x16x32_i8 v[144:147], a[106:107], v[202:203], v[144:147]// 000000003D08: D3D70090 0E43956A
	buffer_load_dwordx4 a[36:39], v34, s[24:27], 0 offen offset:1024// 000000003D10: E05C1400 80862422
	v_mfma_i32_16x16x32_i8 v[144:147], a[108:109], v[204:205], v[144:147]// 000000003D18: D3D70090 0E43996C
	v_mfma_i32_16x16x32_i8 v[144:147], a[110:111], v[206:207], v[144:147]// 000000003D20: D3D70090 0E439D6E
	ds_read_b128 v[164:167], v2 offset:64                      // 000000003D28: D9FE0040 A4000002
	v_mfma_i32_16x16x32_i8 v[148:151], a[96:97], v[208:209], v[148:151]// 000000003D30: D3D70094 0E53A160
	v_mfma_i32_16x16x32_i8 v[148:151], a[98:99], v[210:211], v[148:151]// 000000003D38: D3D70094 0E53A562
	buffer_load_dwordx4 a[40:43], v34, s[24:27], 0 offen offset:2048// 000000003D40: E05C1800 80862822
	v_mfma_i32_16x16x32_i8 v[148:151], a[100:101], v[212:213], v[148:151]// 000000003D48: D3D70094 0E53A964
	v_mfma_i32_16x16x32_i8 v[148:151], a[102:103], v[214:215], v[148:151]// 000000003D50: D3D70094 0E53AD66
	ds_read_b128 v[168:171], v2 offset:128                     // 000000003D58: D9FE0080 A8000002
	v_mfma_i32_16x16x32_i8 v[148:151], a[104:105], v[216:217], v[148:151]// 000000003D60: D3D70094 0E53B168
	v_mfma_i32_16x16x32_i8 v[148:151], a[106:107], v[218:219], v[148:151]// 000000003D68: D3D70094 0E53B56A
	buffer_load_dwordx4 a[44:47], v34, s[24:27], 0 offen offset:3072// 000000003D70: E05C1C00 80862C22
	v_mfma_i32_16x16x32_i8 v[148:151], a[108:109], v[220:221], v[148:151]// 000000003D78: D3D70094 0E53B96C
	v_mfma_i32_16x16x32_i8 v[148:151], a[110:111], v[222:223], v[148:151]// 000000003D80: D3D70094 0E53BD6E
	ds_read_b128 v[172:175], v2 offset:192                     // 000000003D88: D9FE00C0 AC000002
	s_waitcnt vmcnt(20)                                        // 000000003D90: BF8C4F74
	v_mfma_i32_16x16x32_i8 v[152:155], a[112:113], v[192:193], v[152:155]// 000000003D94: D3D70098 0E638170
	v_mfma_i32_16x16x32_i8 v[152:155], a[114:115], v[194:195], v[152:155]// 000000003D9C: D3D70098 0E638572
	buffer_load_dwordx4 a[48:51], v35, s[24:27], 0 offen       // 000000003DA4: E05C1000 80863023
	v_mfma_i32_16x16x32_i8 v[152:155], a[116:117], v[196:197], v[152:155]// 000000003DAC: D3D70098 0E638974
	v_mfma_i32_16x16x32_i8 v[152:155], a[118:119], v[198:199], v[152:155]// 000000003DB4: D3D70098 0E638D76
	ds_read_b128 v[176:179], v2 offset:1024                    // 000000003DBC: D9FE0400 B0000002
	v_mfma_i32_16x16x32_i8 v[152:155], a[120:121], v[200:201], v[152:155]// 000000003DC4: D3D70098 0E639178
	v_mfma_i32_16x16x32_i8 v[152:155], a[122:123], v[202:203], v[152:155]// 000000003DCC: D3D70098 0E63957A
	buffer_load_dwordx4 a[52:55], v35, s[24:27], 0 offen offset:1024// 000000003DD4: E05C1400 80863423
	v_mfma_i32_16x16x32_i8 v[152:155], a[124:125], v[204:205], v[152:155]// 000000003DDC: D3D70098 0E63997C
	v_mfma_i32_16x16x32_i8 v[152:155], a[126:127], v[206:207], v[152:155]// 000000003DE4: D3D70098 0E639D7E
	ds_read_b128 v[180:183], v2 offset:1088                    // 000000003DEC: D9FE0440 B4000002
	v_mfma_i32_16x16x32_i8 v[156:159], a[112:113], v[208:209], v[156:159]// 000000003DF4: D3D7009C 0E73A170
	v_mfma_i32_16x16x32_i8 v[156:159], a[114:115], v[210:211], v[156:159]// 000000003DFC: D3D7009C 0E73A572
	buffer_load_dwordx4 a[56:59], v35, s[24:27], 0 offen offset:2048// 000000003E04: E05C1800 80863823
	v_mfma_i32_16x16x32_i8 v[156:159], a[116:117], v[212:213], v[156:159]// 000000003E0C: D3D7009C 0E73A974
	v_mfma_i32_16x16x32_i8 v[156:159], a[118:119], v[214:215], v[156:159]// 000000003E14: D3D7009C 0E73AD76
	ds_read_b128 v[184:187], v2 offset:1152                    // 000000003E1C: D9FE0480 B8000002
	v_mfma_i32_16x16x32_i8 v[156:159], a[120:121], v[216:217], v[156:159]// 000000003E24: D3D7009C 0E73B178
	v_mfma_i32_16x16x32_i8 v[156:159], a[122:123], v[218:219], v[156:159]// 000000003E2C: D3D7009C 0E73B57A
	buffer_load_dwordx4 a[60:63], v35, s[24:27], 0 offen offset:3072// 000000003E34: E05C1C00 80863C23
	v_mfma_i32_16x16x32_i8 v[156:159], a[124:125], v[220:221], v[156:159]// 000000003E3C: D3D7009C 0E73B97C
	v_mfma_i32_16x16x32_i8 v[156:159], a[126:127], v[222:223], v[156:159]// 000000003E44: D3D7009C 0E73BD7E
	ds_read_b128 v[188:191], v2 offset:1216                    // 000000003E4C: D9FE04C0 BC000002
	s_add_u32 s60, 0x300, s80                                  // 000000003E54: 803C50FF 00000300
	s_cmp_lt_u32 s60, s81                                      // 000000003E5C: BF0A513C
	s_cselect_b32 s57, s57, 0                                  // 000000003E60: 85398039
	s_add_u32 s60, 0x200, s80                                  // 000000003E64: 803C50FF 00000200
	s_cmp_lt_u32 s60, s81                                      // 000000003E6C: BF0A513C
	s_cselect_b32 s58, s58, 0                                  // 000000003E70: 853A803A
	s_add_u32 s20, s57, s20                                    // 000000003E74: 80141439
	s_addc_u32 s21, 0, s21                                     // 000000003E78: 82151580
	s_add_u32 s24, s58, s24                                    // 000000003E7C: 8018183A
	s_addc_u32 s25, 0, s25                                     // 000000003E80: 82191980
	s_addk_i32 s80, 0x100                                      // 000000003E84: B7500100
	s_cmp_lt_i32 s80, s81                                      // 000000003E88: BF045150
	s_cbranch_scc0 label_0425                                  // 000000003E8C: BF840001
	s_branch label_0260                                        // 000000003E90: BF82FE3B

0000000000003e94 <label_0425>:
	s_mov_b32 s36, -1                                          // 000000003E94: BEA400C1
	s_mov_b32 s37, -1                                          // 000000003E98: BEA500C1
	s_mov_b64 s[60:61], 0                                      // 000000003E9C: BEBC0180
	s_cmp_lt_u32 s82, s66                                      // 000000003EA0: BF0A4252
	s_cselect_b64 s[20:21], s[36:37], s[60:61]                 // 000000003EA4: 85943C24
	s_cmp_lt_u32 s83, s66                                      // 000000003EA8: BF0A4253
	s_cselect_b64 s[22:23], s[36:37], s[60:61]                 // 000000003EAC: 85963C24
	s_cmp_lt_u32 s84, s66                                      // 000000003EB0: BF0A4254
	s_cselect_b64 s[24:25], s[36:37], s[60:61]                 // 000000003EB4: 85983C24
	s_cmp_lt_u32 s85, s66                                      // 000000003EB8: BF0A4255
	s_cselect_b64 s[26:27], s[36:37], s[60:61]                 // 000000003EBC: 859A3C24
	s_cmp_lt_u32 s86, s66                                      // 000000003EC0: BF0A4256
	s_cselect_b64 s[28:29], s[36:37], s[60:61]                 // 000000003EC4: 859C3C24
	s_cmp_lt_u32 s87, s66                                      // 000000003EC8: BF0A4257
	s_cselect_b64 s[30:31], s[36:37], s[60:61]                 // 000000003ECC: 859E3C24
	s_cmp_lt_u32 s88, s66                                      // 000000003ED0: BF0A4258
	s_cselect_b64 s[32:33], s[36:37], s[60:61]                 // 000000003ED4: 85A03C24
	s_cmp_lt_u32 s89, s66                                      // 000000003ED8: BF0A4259
	s_cselect_b64 s[34:35], s[36:37], s[60:61]                 // 000000003EDC: 85A23C24
	v_cvt_f32_i32_e32 v128, v128                               // 000000003EE0: 7F000B80
	v_cvt_f32_i32_e32 v129, v129                               // 000000003EE4: 7F020B81
	v_cvt_f32_i32_e32 v130, v130                               // 000000003EE8: 7F040B82
	v_cvt_f32_i32_e32 v131, v131                               // 000000003EEC: 7F060B83
	v_mul_f32_e32 v128, v13, v128                              // 000000003EF0: 0B01010D
	v_mul_f32_e32 v129, v13, v129                              // 000000003EF4: 0B03030D
	v_mul_f32_e32 v130, v13, v130                              // 000000003EF8: 0B05050D
	v_mul_f32_e32 v131, v13, v131                              // 000000003EFC: 0B07070D
	v_mul_f32_dpp v128, v15, v128 row_newbcast:0 row_mask:0xf bank_mask:0xf// 000000003F00: 0B0100FA FF01500F
	v_mul_f32_dpp v129, v15, v129 row_newbcast:1 row_mask:0xf bank_mask:0xf// 000000003F08: 0B0302FA FF01510F
	v_mul_f32_dpp v130, v15, v130 row_newbcast:2 row_mask:0xf bank_mask:0xf// 000000003F10: 0B0504FA FF01520F
	v_mul_f32_dpp v131, v15, v131 row_newbcast:3 row_mask:0xf bank_mask:0xf// 000000003F18: 0B0706FA FF01530F
	v_cvt_f32_i32_e32 v132, v132                               // 000000003F20: 7F080B84
	v_cvt_f32_i32_e32 v133, v133                               // 000000003F24: 7F0A0B85
	v_cvt_f32_i32_e32 v134, v134                               // 000000003F28: 7F0C0B86
	v_cvt_f32_i32_e32 v135, v135                               // 000000003F2C: 7F0E0B87
	v_mul_f32_e32 v132, v14, v132                              // 000000003F30: 0B09090E
	v_mul_f32_e32 v133, v14, v133                              // 000000003F34: 0B0B0B0E
	v_mul_f32_e32 v134, v14, v134                              // 000000003F38: 0B0D0D0E
	v_mul_f32_e32 v135, v14, v135                              // 000000003F3C: 0B0F0F0E
	v_mul_f32_dpp v132, v15, v132 row_newbcast:0 row_mask:0xf bank_mask:0xf// 000000003F40: 0B0908FA FF01500F
	v_mul_f32_dpp v133, v15, v133 row_newbcast:1 row_mask:0xf bank_mask:0xf// 000000003F48: 0B0B0AFA FF01510F
	v_mul_f32_dpp v134, v15, v134 row_newbcast:2 row_mask:0xf bank_mask:0xf// 000000003F50: 0B0D0CFA FF01520F
	v_mul_f32_dpp v135, v15, v135 row_newbcast:3 row_mask:0xf bank_mask:0xf// 000000003F58: 0B0F0EFA FF01530F
	v_cvt_f32_i32_e32 v136, v136                               // 000000003F60: 7F100B88
	v_cvt_f32_i32_e32 v137, v137                               // 000000003F64: 7F120B89
	v_cvt_f32_i32_e32 v138, v138                               // 000000003F68: 7F140B8A
	v_cvt_f32_i32_e32 v139, v139                               // 000000003F6C: 7F160B8B
	v_mul_f32_e32 v136, v13, v136                              // 000000003F70: 0B11110D
	v_mul_f32_e32 v137, v13, v137                              // 000000003F74: 0B13130D
	v_mul_f32_e32 v138, v13, v138                              // 000000003F78: 0B15150D
	v_mul_f32_e32 v139, v13, v139                              // 000000003F7C: 0B17170D
	v_mul_f32_dpp v136, v15, v136 row_newbcast:4 row_mask:0xf bank_mask:0xf// 000000003F80: 0B1110FA FF01540F
	v_mul_f32_dpp v137, v15, v137 row_newbcast:5 row_mask:0xf bank_mask:0xf// 000000003F88: 0B1312FA FF01550F
	v_mul_f32_dpp v138, v15, v138 row_newbcast:6 row_mask:0xf bank_mask:0xf// 000000003F90: 0B1514FA FF01560F
	v_mul_f32_dpp v139, v15, v139 row_newbcast:7 row_mask:0xf bank_mask:0xf// 000000003F98: 0B1716FA FF01570F
	v_cvt_f32_i32_e32 v140, v140                               // 000000003FA0: 7F180B8C
	v_cvt_f32_i32_e32 v141, v141                               // 000000003FA4: 7F1A0B8D
	v_cvt_f32_i32_e32 v142, v142                               // 000000003FA8: 7F1C0B8E
	v_cvt_f32_i32_e32 v143, v143                               // 000000003FAC: 7F1E0B8F
	v_mul_f32_e32 v140, v14, v140                              // 000000003FB0: 0B19190E
	v_mul_f32_e32 v141, v14, v141                              // 000000003FB4: 0B1B1B0E
	v_mul_f32_e32 v142, v14, v142                              // 000000003FB8: 0B1D1D0E
	v_mul_f32_e32 v143, v14, v143                              // 000000003FBC: 0B1F1F0E
	v_mul_f32_dpp v140, v15, v140 row_newbcast:4 row_mask:0xf bank_mask:0xf// 000000003FC0: 0B1918FA FF01540F
	v_mul_f32_dpp v141, v15, v141 row_newbcast:5 row_mask:0xf bank_mask:0xf// 000000003FC8: 0B1B1AFA FF01550F
	v_mul_f32_dpp v142, v15, v142 row_newbcast:6 row_mask:0xf bank_mask:0xf// 000000003FD0: 0B1D1CFA FF01560F
	v_mul_f32_dpp v143, v15, v143 row_newbcast:7 row_mask:0xf bank_mask:0xf// 000000003FD8: 0B1F1EFA FF01570F
	v_cvt_f32_i32_e32 v144, v144                               // 000000003FE0: 7F200B90
	v_cvt_f32_i32_e32 v145, v145                               // 000000003FE4: 7F220B91
	v_cvt_f32_i32_e32 v146, v146                               // 000000003FE8: 7F240B92
	v_cvt_f32_i32_e32 v147, v147                               // 000000003FEC: 7F260B93
	v_mul_f32_e32 v144, v13, v144                              // 000000003FF0: 0B21210D
	v_mul_f32_e32 v145, v13, v145                              // 000000003FF4: 0B23230D
	v_mul_f32_e32 v146, v13, v146                              // 000000003FF8: 0B25250D
	v_mul_f32_e32 v147, v13, v147                              // 000000003FFC: 0B27270D
	v_mul_f32_dpp v144, v15, v144 row_newbcast:8 row_mask:0xf bank_mask:0xf// 000000004000: 0B2120FA FF01580F
	v_mul_f32_dpp v145, v15, v145 row_newbcast:9 row_mask:0xf bank_mask:0xf// 000000004008: 0B2322FA FF01590F
	v_mul_f32_dpp v146, v15, v146 row_newbcast:10 row_mask:0xf bank_mask:0xf// 000000004010: 0B2524FA FF015A0F
	v_mul_f32_dpp v147, v15, v147 row_newbcast:11 row_mask:0xf bank_mask:0xf// 000000004018: 0B2726FA FF015B0F
	v_cvt_f32_i32_e32 v148, v148                               // 000000004020: 7F280B94
	v_cvt_f32_i32_e32 v149, v149                               // 000000004024: 7F2A0B95
	v_cvt_f32_i32_e32 v150, v150                               // 000000004028: 7F2C0B96
	v_cvt_f32_i32_e32 v151, v151                               // 00000000402C: 7F2E0B97
	v_mul_f32_e32 v148, v14, v148                              // 000000004030: 0B29290E
	v_mul_f32_e32 v149, v14, v149                              // 000000004034: 0B2B2B0E
	v_mul_f32_e32 v150, v14, v150                              // 000000004038: 0B2D2D0E
	v_mul_f32_e32 v151, v14, v151                              // 00000000403C: 0B2F2F0E
	v_mul_f32_dpp v148, v15, v148 row_newbcast:8 row_mask:0xf bank_mask:0xf// 000000004040: 0B2928FA FF01580F
	v_mul_f32_dpp v149, v15, v149 row_newbcast:9 row_mask:0xf bank_mask:0xf// 000000004048: 0B2B2AFA FF01590F
	v_mul_f32_dpp v150, v15, v150 row_newbcast:10 row_mask:0xf bank_mask:0xf// 000000004050: 0B2D2CFA FF015A0F
	v_mul_f32_dpp v151, v15, v151 row_newbcast:11 row_mask:0xf bank_mask:0xf// 000000004058: 0B2F2EFA FF015B0F
	v_cvt_f32_i32_e32 v152, v152                               // 000000004060: 7F300B98
	v_cvt_f32_i32_e32 v153, v153                               // 000000004064: 7F320B99
	v_cvt_f32_i32_e32 v154, v154                               // 000000004068: 7F340B9A
	v_cvt_f32_i32_e32 v155, v155                               // 00000000406C: 7F360B9B
	v_mul_f32_e32 v152, v13, v152                              // 000000004070: 0B31310D
	v_mul_f32_e32 v153, v13, v153                              // 000000004074: 0B33330D
	v_mul_f32_e32 v154, v13, v154                              // 000000004078: 0B35350D
	v_mul_f32_e32 v155, v13, v155                              // 00000000407C: 0B37370D
	v_mul_f32_dpp v152, v15, v152 row_newbcast:12 row_mask:0xf bank_mask:0xf// 000000004080: 0B3130FA FF015C0F
	v_mul_f32_dpp v153, v15, v153 row_newbcast:13 row_mask:0xf bank_mask:0xf// 000000004088: 0B3332FA FF015D0F
	v_mul_f32_dpp v154, v15, v154 row_newbcast:14 row_mask:0xf bank_mask:0xf// 000000004090: 0B3534FA FF015E0F
	v_mul_f32_dpp v155, v15, v155 row_newbcast:15 row_mask:0xf bank_mask:0xf// 000000004098: 0B3736FA FF015F0F
	v_cvt_f32_i32_e32 v156, v156                               // 0000000040A0: 7F380B9C
	v_cvt_f32_i32_e32 v157, v157                               // 0000000040A4: 7F3A0B9D
	v_cvt_f32_i32_e32 v158, v158                               // 0000000040A8: 7F3C0B9E
	v_cvt_f32_i32_e32 v159, v159                               // 0000000040AC: 7F3E0B9F
	v_mul_f32_e32 v156, v14, v156                              // 0000000040B0: 0B39390E
	v_mul_f32_e32 v157, v14, v157                              // 0000000040B4: 0B3B3B0E
	v_mul_f32_e32 v158, v14, v158                              // 0000000040B8: 0B3D3D0E
	v_mul_f32_e32 v159, v14, v159                              // 0000000040BC: 0B3F3F0E
	v_mul_f32_dpp v156, v15, v156 row_newbcast:12 row_mask:0xf bank_mask:0xf// 0000000040C0: 0B3938FA FF015C0F
	v_mul_f32_dpp v157, v15, v157 row_newbcast:13 row_mask:0xf bank_mask:0xf// 0000000040C8: 0B3B3AFA FF015D0F
	v_mul_f32_dpp v158, v15, v158 row_newbcast:14 row_mask:0xf bank_mask:0xf// 0000000040D0: 0B3D3CFA FF015E0F
	v_mul_f32_dpp v159, v15, v159 row_newbcast:15 row_mask:0xf bank_mask:0xf// 0000000040D8: 0B3F3EFA FF015F0F
	s_waitcnt vmcnt(12)                                        // 0000000040E0: BF8C0F7C
	buffer_load_dwordx4 a[0:3], v36, s[12:15], 0 offen         // 0000000040E4: E05C1000 80830024
	v_mul_f32_e64 v44, -v128, s6                               // 0000000040EC: D105002C 20000D80
	v_mul_f32_e64 v45, -v129, s6                               // 0000000040F4: D105002D 20000D81
	v_mul_f32_e64 v46, -v130, s6                               // 0000000040FC: D105002E 20000D82
	v_mul_f32_e64 v47, -v131, s6                               // 000000004104: D105002F 20000D83
	v_exp_f32_e32 v44, v44                                     // 00000000410C: 7E58412C
	v_exp_f32_e32 v45, v45                                     // 000000004110: 7E5A412D
	v_exp_f32_e32 v46, v46                                     // 000000004114: 7E5C412E
	v_exp_f32_e32 v47, v47                                     // 000000004118: 7E5E412F
	buffer_load_dwordx4 a[4:7], v37, s[12:15], 0 offen         // 00000000411C: E05C1000 80830425
	v_add_f32_e64 v44, v44, 1.0                                // 000000004124: D101002C 0001E52C
	v_add_f32_e64 v45, v45, 1.0                                // 00000000412C: D101002D 0001E52D
	v_add_f32_e64 v46, v46, 1.0                                // 000000004134: D101002E 0001E52E
	v_add_f32_e64 v47, v47, 1.0                                // 00000000413C: D101002F 0001E52F
	v_rcp_f32_e32 v44, v44                                     // 000000004144: 7E58452C
	v_rcp_f32_e32 v45, v45                                     // 000000004148: 7E5A452D
	v_rcp_f32_e32 v46, v46                                     // 00000000414C: 7E5C452E
	v_rcp_f32_e32 v47, v47                                     // 000000004150: 7E5E452F
	v_mul_f32_e32 v128, v128, v44                              // 000000004154: 0B005980
	v_mul_f32_e32 v129, v129, v45                              // 000000004158: 0B025B81
	v_mul_f32_e32 v130, v130, v46                              // 00000000415C: 0B045D82
	v_mul_f32_e32 v131, v131, v47                              // 000000004160: 0B065F83
	buffer_load_dwordx4 a[8:11], v38, s[12:15], 0 offen        // 000000004164: E05C1000 80830826
	v_mul_f32_e64 v44, -v132, s6                               // 00000000416C: D105002C 20000D84
	v_mul_f32_e64 v45, -v133, s6                               // 000000004174: D105002D 20000D85
	v_mul_f32_e64 v46, -v134, s6                               // 00000000417C: D105002E 20000D86
	v_mul_f32_e64 v47, -v135, s6                               // 000000004184: D105002F 20000D87
	v_exp_f32_e32 v44, v44                                     // 00000000418C: 7E58412C
	v_exp_f32_e32 v45, v45                                     // 000000004190: 7E5A412D
	v_exp_f32_e32 v46, v46                                     // 000000004194: 7E5C412E
	v_exp_f32_e32 v47, v47                                     // 000000004198: 7E5E412F
	buffer_load_dwordx4 a[12:15], v39, s[12:15], 0 offen       // 00000000419C: E05C1000 80830C27
	s_add_u32 s12, s78, s12                                    // 0000000041A4: 800C0C4E
	s_addc_u32 s13, 0, s13                                     // 0000000041A8: 820D0D80
	v_add_f32_e64 v44, v44, 1.0                                // 0000000041AC: D101002C 0001E52C
	v_add_f32_e64 v45, v45, 1.0                                // 0000000041B4: D101002D 0001E52D
	v_add_f32_e64 v46, v46, 1.0                                // 0000000041BC: D101002E 0001E52E
	v_add_f32_e64 v47, v47, 1.0                                // 0000000041C4: D101002F 0001E52F
	v_rcp_f32_e32 v44, v44                                     // 0000000041CC: 7E58452C
	v_rcp_f32_e32 v45, v45                                     // 0000000041D0: 7E5A452D
	v_rcp_f32_e32 v46, v46                                     // 0000000041D4: 7E5C452E
	v_rcp_f32_e32 v47, v47                                     // 0000000041D8: 7E5E452F
	v_mul_f32_e32 v132, v132, v44                              // 0000000041DC: 0B085984
	v_mul_f32_e32 v133, v133, v45                              // 0000000041E0: 0B0A5B85
	v_mul_f32_e32 v134, v134, v46                              // 0000000041E4: 0B0C5D86
	v_mul_f32_e32 v135, v135, v47                              // 0000000041E8: 0B0E5F87
	s_waitcnt vmcnt(12)                                        // 0000000041EC: BF8C0F7C
	buffer_load_dwordx4 a[16:19], v36, s[12:15], 0 offen       // 0000000041F0: E05C1000 80831024
	v_mul_f32_e64 v44, -v136, s6                               // 0000000041F8: D105002C 20000D88
	v_mul_f32_e64 v45, -v137, s6                               // 000000004200: D105002D 20000D89
	v_mul_f32_e64 v46, -v138, s6                               // 000000004208: D105002E 20000D8A
	v_mul_f32_e64 v47, -v139, s6                               // 000000004210: D105002F 20000D8B
	v_exp_f32_e32 v44, v44                                     // 000000004218: 7E58412C
	v_exp_f32_e32 v45, v45                                     // 00000000421C: 7E5A412D
	v_exp_f32_e32 v46, v46                                     // 000000004220: 7E5C412E
	v_exp_f32_e32 v47, v47                                     // 000000004224: 7E5E412F
	buffer_load_dwordx4 a[20:23], v37, s[12:15], 0 offen       // 000000004228: E05C1000 80831425
	v_add_f32_e64 v44, v44, 1.0                                // 000000004230: D101002C 0001E52C
	v_add_f32_e64 v45, v45, 1.0                                // 000000004238: D101002D 0001E52D
	v_add_f32_e64 v46, v46, 1.0                                // 000000004240: D101002E 0001E52E
	v_add_f32_e64 v47, v47, 1.0                                // 000000004248: D101002F 0001E52F
	v_rcp_f32_e32 v44, v44                                     // 000000004250: 7E58452C
	v_rcp_f32_e32 v45, v45                                     // 000000004254: 7E5A452D
	v_rcp_f32_e32 v46, v46                                     // 000000004258: 7E5C452E
	v_rcp_f32_e32 v47, v47                                     // 00000000425C: 7E5E452F
	v_mul_f32_e32 v136, v136, v44                              // 000000004260: 0B105988
	v_mul_f32_e32 v137, v137, v45                              // 000000004264: 0B125B89
	v_mul_f32_e32 v138, v138, v46                              // 000000004268: 0B145D8A
	v_mul_f32_e32 v139, v139, v47                              // 00000000426C: 0B165F8B
	buffer_load_dwordx4 a[24:27], v38, s[12:15], 0 offen       // 000000004270: E05C1000 80831826
	v_mul_f32_e64 v44, -v140, s6                               // 000000004278: D105002C 20000D8C
	v_mul_f32_e64 v45, -v141, s6                               // 000000004280: D105002D 20000D8D
	v_mul_f32_e64 v46, -v142, s6                               // 000000004288: D105002E 20000D8E
	v_mul_f32_e64 v47, -v143, s6                               // 000000004290: D105002F 20000D8F
	v_exp_f32_e32 v44, v44                                     // 000000004298: 7E58412C
	v_exp_f32_e32 v45, v45                                     // 00000000429C: 7E5A412D
	v_exp_f32_e32 v46, v46                                     // 0000000042A0: 7E5C412E
	v_exp_f32_e32 v47, v47                                     // 0000000042A4: 7E5E412F
	buffer_load_dwordx4 a[28:31], v39, s[12:15], 0 offen       // 0000000042A8: E05C1000 80831C27
	s_add_u32 s12, s78, s12                                    // 0000000042B0: 800C0C4E
	s_addc_u32 s13, 0, s13                                     // 0000000042B4: 820D0D80
	v_add_f32_e64 v44, v44, 1.0                                // 0000000042B8: D101002C 0001E52C
	v_add_f32_e64 v45, v45, 1.0                                // 0000000042C0: D101002D 0001E52D
	v_add_f32_e64 v46, v46, 1.0                                // 0000000042C8: D101002E 0001E52E
	v_add_f32_e64 v47, v47, 1.0                                // 0000000042D0: D101002F 0001E52F
	v_rcp_f32_e32 v44, v44                                     // 0000000042D8: 7E58452C
	v_rcp_f32_e32 v45, v45                                     // 0000000042DC: 7E5A452D
	v_rcp_f32_e32 v46, v46                                     // 0000000042E0: 7E5C452E
	v_rcp_f32_e32 v47, v47                                     // 0000000042E4: 7E5E452F
	v_mul_f32_e32 v140, v140, v44                              // 0000000042E8: 0B18598C
	v_mul_f32_e32 v141, v141, v45                              // 0000000042EC: 0B1A5B8D
	v_mul_f32_e32 v142, v142, v46                              // 0000000042F0: 0B1C5D8E
	v_mul_f32_e32 v143, v143, v47                              // 0000000042F4: 0B1E5F8F
	s_waitcnt vmcnt(12)                                        // 0000000042F8: BF8C0F7C
	buffer_load_dwordx4 a[32:35], v36, s[12:15], 0 offen       // 0000000042FC: E05C1000 80832024
	v_mul_f32_e64 v44, -v144, s6                               // 000000004304: D105002C 20000D90
	v_mul_f32_e64 v45, -v145, s6                               // 00000000430C: D105002D 20000D91
	v_mul_f32_e64 v46, -v146, s6                               // 000000004314: D105002E 20000D92
	v_mul_f32_e64 v47, -v147, s6                               // 00000000431C: D105002F 20000D93
	v_exp_f32_e32 v44, v44                                     // 000000004324: 7E58412C
	v_exp_f32_e32 v45, v45                                     // 000000004328: 7E5A412D
	v_exp_f32_e32 v46, v46                                     // 00000000432C: 7E5C412E
	v_exp_f32_e32 v47, v47                                     // 000000004330: 7E5E412F
	buffer_load_dwordx4 a[36:39], v37, s[12:15], 0 offen       // 000000004334: E05C1000 80832425
	v_add_f32_e64 v44, v44, 1.0                                // 00000000433C: D101002C 0001E52C
	v_add_f32_e64 v45, v45, 1.0                                // 000000004344: D101002D 0001E52D
	v_add_f32_e64 v46, v46, 1.0                                // 00000000434C: D101002E 0001E52E
	v_add_f32_e64 v47, v47, 1.0                                // 000000004354: D101002F 0001E52F
	v_rcp_f32_e32 v44, v44                                     // 00000000435C: 7E58452C
	v_rcp_f32_e32 v45, v45                                     // 000000004360: 7E5A452D
	v_rcp_f32_e32 v46, v46                                     // 000000004364: 7E5C452E
	v_rcp_f32_e32 v47, v47                                     // 000000004368: 7E5E452F
	v_mul_f32_e32 v144, v144, v44                              // 00000000436C: 0B205990
	v_mul_f32_e32 v145, v145, v45                              // 000000004370: 0B225B91
	v_mul_f32_e32 v146, v146, v46                              // 000000004374: 0B245D92
	v_mul_f32_e32 v147, v147, v47                              // 000000004378: 0B265F93
	buffer_load_dwordx4 a[40:43], v38, s[12:15], 0 offen       // 00000000437C: E05C1000 80832826
	v_mul_f32_e64 v44, -v148, s6                               // 000000004384: D105002C 20000D94
	v_mul_f32_e64 v45, -v149, s6                               // 00000000438C: D105002D 20000D95
	v_mul_f32_e64 v46, -v150, s6                               // 000000004394: D105002E 20000D96
	v_mul_f32_e64 v47, -v151, s6                               // 00000000439C: D105002F 20000D97
	v_exp_f32_e32 v44, v44                                     // 0000000043A4: 7E58412C
	v_exp_f32_e32 v45, v45                                     // 0000000043A8: 7E5A412D
	v_exp_f32_e32 v46, v46                                     // 0000000043AC: 7E5C412E
	v_exp_f32_e32 v47, v47                                     // 0000000043B0: 7E5E412F
	buffer_load_dwordx4 a[44:47], v39, s[12:15], 0 offen       // 0000000043B4: E05C1000 80832C27
	s_add_u32 s12, s78, s12                                    // 0000000043BC: 800C0C4E
	s_addc_u32 s13, 0, s13                                     // 0000000043C0: 820D0D80
	v_add_f32_e64 v44, v44, 1.0                                // 0000000043C4: D101002C 0001E52C
	v_add_f32_e64 v45, v45, 1.0                                // 0000000043CC: D101002D 0001E52D
	v_add_f32_e64 v46, v46, 1.0                                // 0000000043D4: D101002E 0001E52E
	v_add_f32_e64 v47, v47, 1.0                                // 0000000043DC: D101002F 0001E52F
	v_rcp_f32_e32 v44, v44                                     // 0000000043E4: 7E58452C
	v_rcp_f32_e32 v45, v45                                     // 0000000043E8: 7E5A452D
	v_rcp_f32_e32 v46, v46                                     // 0000000043EC: 7E5C452E
	v_rcp_f32_e32 v47, v47                                     // 0000000043F0: 7E5E452F
	v_mul_f32_e32 v148, v148, v44                              // 0000000043F4: 0B285994
	v_mul_f32_e32 v149, v149, v45                              // 0000000043F8: 0B2A5B95
	v_mul_f32_e32 v150, v150, v46                              // 0000000043FC: 0B2C5D96
	v_mul_f32_e32 v151, v151, v47                              // 000000004400: 0B2E5F97
	s_waitcnt vmcnt(12)                                        // 000000004404: BF8C0F7C
	buffer_load_dwordx4 a[48:51], v36, s[12:15], 0 offen       // 000000004408: E05C1000 80833024
	v_mul_f32_e64 v44, -v152, s6                               // 000000004410: D105002C 20000D98
	v_mul_f32_e64 v45, -v153, s6                               // 000000004418: D105002D 20000D99
	v_mul_f32_e64 v46, -v154, s6                               // 000000004420: D105002E 20000D9A
	v_mul_f32_e64 v47, -v155, s6                               // 000000004428: D105002F 20000D9B
	v_exp_f32_e32 v44, v44                                     // 000000004430: 7E58412C
	v_exp_f32_e32 v45, v45                                     // 000000004434: 7E5A412D
	v_exp_f32_e32 v46, v46                                     // 000000004438: 7E5C412E
	v_exp_f32_e32 v47, v47                                     // 00000000443C: 7E5E412F
	buffer_load_dwordx4 a[52:55], v37, s[12:15], 0 offen       // 000000004440: E05C1000 80833425
	v_add_f32_e64 v44, v44, 1.0                                // 000000004448: D101002C 0001E52C
	v_add_f32_e64 v45, v45, 1.0                                // 000000004450: D101002D 0001E52D
	v_add_f32_e64 v46, v46, 1.0                                // 000000004458: D101002E 0001E52E
	v_add_f32_e64 v47, v47, 1.0                                // 000000004460: D101002F 0001E52F
	v_rcp_f32_e32 v44, v44                                     // 000000004468: 7E58452C
	v_rcp_f32_e32 v45, v45                                     // 00000000446C: 7E5A452D
	v_rcp_f32_e32 v46, v46                                     // 000000004470: 7E5C452E
	v_rcp_f32_e32 v47, v47                                     // 000000004474: 7E5E452F
	v_mul_f32_e32 v152, v152, v44                              // 000000004478: 0B305998
	v_mul_f32_e32 v153, v153, v45                              // 00000000447C: 0B325B99
	v_mul_f32_e32 v154, v154, v46                              // 000000004480: 0B345D9A
	v_mul_f32_e32 v155, v155, v47                              // 000000004484: 0B365F9B
	buffer_load_dwordx4 a[56:59], v38, s[12:15], 0 offen       // 000000004488: E05C1000 80833826
	v_mul_f32_e64 v44, -v156, s6                               // 000000004490: D105002C 20000D9C
	v_mul_f32_e64 v45, -v157, s6                               // 000000004498: D105002D 20000D9D
	v_mul_f32_e64 v46, -v158, s6                               // 0000000044A0: D105002E 20000D9E
	v_mul_f32_e64 v47, -v159, s6                               // 0000000044A8: D105002F 20000D9F
	v_exp_f32_e32 v44, v44                                     // 0000000044B0: 7E58412C
	v_exp_f32_e32 v45, v45                                     // 0000000044B4: 7E5A412D
	v_exp_f32_e32 v46, v46                                     // 0000000044B8: 7E5C412E
	v_exp_f32_e32 v47, v47                                     // 0000000044BC: 7E5E412F
	buffer_load_dwordx4 a[60:63], v39, s[12:15], 0 offen       // 0000000044C0: E05C1000 80833C27
	v_add_f32_e64 v44, v44, 1.0                                // 0000000044C8: D101002C 0001E52C
	v_add_f32_e64 v45, v45, 1.0                                // 0000000044D0: D101002D 0001E52D
	v_add_f32_e64 v46, v46, 1.0                                // 0000000044D8: D101002E 0001E52E
	v_add_f32_e64 v47, v47, 1.0                                // 0000000044E0: D101002F 0001E52F
	v_rcp_f32_e32 v44, v44                                     // 0000000044E8: 7E58452C
	v_rcp_f32_e32 v45, v45                                     // 0000000044EC: 7E5A452D
	v_rcp_f32_e32 v46, v46                                     // 0000000044F0: 7E5C452E
	v_rcp_f32_e32 v47, v47                                     // 0000000044F4: 7E5E452F
	v_mul_f32_e32 v156, v156, v44                              // 0000000044F8: 0B38599C
	v_mul_f32_e32 v157, v157, v45                              // 0000000044FC: 0B3A5B9D
	v_mul_f32_e32 v158, v158, v46                              // 000000004500: 0B3C5D9E
	v_mul_f32_e32 v159, v159, v47                              // 000000004504: 0B3E5F9F
	v_mul_f32_dpp v128, v16, v128 row_newbcast:0 row_mask:0xf bank_mask:0xf// 000000004508: 0B0100FA FF015010
	v_mul_f32_dpp v129, v16, v129 row_newbcast:1 row_mask:0xf bank_mask:0xf// 000000004510: 0B0302FA FF015110
	v_mul_f32_dpp v130, v16, v130 row_newbcast:2 row_mask:0xf bank_mask:0xf// 000000004518: 0B0504FA FF015210
	v_mul_f32_dpp v131, v16, v131 row_newbcast:3 row_mask:0xf bank_mask:0xf// 000000004520: 0B0706FA FF015310
	v_mul_f32_dpp v132, v16, v132 row_newbcast:0 row_mask:0xf bank_mask:0xf// 000000004528: 0B0908FA FF015010
	v_mul_f32_dpp v133, v16, v133 row_newbcast:1 row_mask:0xf bank_mask:0xf// 000000004530: 0B0B0AFA FF015110
	v_mul_f32_dpp v134, v16, v134 row_newbcast:2 row_mask:0xf bank_mask:0xf// 000000004538: 0B0D0CFA FF015210
	v_mul_f32_dpp v135, v16, v135 row_newbcast:3 row_mask:0xf bank_mask:0xf// 000000004540: 0B0F0EFA FF015310
	v_mul_f32_dpp v136, v16, v136 row_newbcast:4 row_mask:0xf bank_mask:0xf// 000000004548: 0B1110FA FF015410
	v_mul_f32_dpp v137, v16, v137 row_newbcast:5 row_mask:0xf bank_mask:0xf// 000000004550: 0B1312FA FF015510
	v_mul_f32_dpp v138, v16, v138 row_newbcast:6 row_mask:0xf bank_mask:0xf// 000000004558: 0B1514FA FF015610
	v_mul_f32_dpp v139, v16, v139 row_newbcast:7 row_mask:0xf bank_mask:0xf// 000000004560: 0B1716FA FF015710
	v_mul_f32_dpp v140, v16, v140 row_newbcast:4 row_mask:0xf bank_mask:0xf// 000000004568: 0B1918FA FF015410
	v_mul_f32_dpp v141, v16, v141 row_newbcast:5 row_mask:0xf bank_mask:0xf// 000000004570: 0B1B1AFA FF015510
	v_mul_f32_dpp v142, v16, v142 row_newbcast:6 row_mask:0xf bank_mask:0xf// 000000004578: 0B1D1CFA FF015610
	v_mul_f32_dpp v143, v16, v143 row_newbcast:7 row_mask:0xf bank_mask:0xf// 000000004580: 0B1F1EFA FF015710
	v_mul_f32_dpp v144, v16, v144 row_newbcast:8 row_mask:0xf bank_mask:0xf// 000000004588: 0B2120FA FF015810
	v_mul_f32_dpp v145, v16, v145 row_newbcast:9 row_mask:0xf bank_mask:0xf// 000000004590: 0B2322FA FF015910
	v_mul_f32_dpp v146, v16, v146 row_newbcast:10 row_mask:0xf bank_mask:0xf// 000000004598: 0B2524FA FF015A10
	v_mul_f32_dpp v147, v16, v147 row_newbcast:11 row_mask:0xf bank_mask:0xf// 0000000045A0: 0B2726FA FF015B10
	v_mul_f32_dpp v148, v16, v148 row_newbcast:8 row_mask:0xf bank_mask:0xf// 0000000045A8: 0B2928FA FF015810
	v_mul_f32_dpp v149, v16, v149 row_newbcast:9 row_mask:0xf bank_mask:0xf// 0000000045B0: 0B2B2AFA FF015910
	v_mul_f32_dpp v150, v16, v150 row_newbcast:10 row_mask:0xf bank_mask:0xf// 0000000045B8: 0B2D2CFA FF015A10
	v_mul_f32_dpp v151, v16, v151 row_newbcast:11 row_mask:0xf bank_mask:0xf// 0000000045C0: 0B2F2EFA FF015B10
	v_mul_f32_dpp v152, v16, v152 row_newbcast:12 row_mask:0xf bank_mask:0xf// 0000000045C8: 0B3130FA FF015C10
	v_mul_f32_dpp v153, v16, v153 row_newbcast:13 row_mask:0xf bank_mask:0xf// 0000000045D0: 0B3332FA FF015D10
	v_mul_f32_dpp v154, v16, v154 row_newbcast:14 row_mask:0xf bank_mask:0xf// 0000000045D8: 0B3534FA FF015E10
	v_mul_f32_dpp v155, v16, v155 row_newbcast:15 row_mask:0xf bank_mask:0xf// 0000000045E0: 0B3736FA FF015F10
	v_mul_f32_dpp v156, v16, v156 row_newbcast:12 row_mask:0xf bank_mask:0xf// 0000000045E8: 0B3938FA FF015C10
	v_mul_f32_dpp v157, v16, v157 row_newbcast:13 row_mask:0xf bank_mask:0xf// 0000000045F0: 0B3B3AFA FF015D10
	v_mul_f32_dpp v158, v16, v158 row_newbcast:14 row_mask:0xf bank_mask:0xf// 0000000045F8: 0B3D3CFA FF015E10
	v_mul_f32_dpp v159, v16, v159 row_newbcast:15 row_mask:0xf bank_mask:0xf// 000000004600: 0B3F3EFA FF015F10
	buffer_load_dword v11, v5, s[16:19], 0 offen               // 000000004608: E0501000 80040B05
	v_mov_b32_e32 v20, 0x358637bd                              // 000000004610: 7E2802FF 358637BD
	v_mov_b32_e32 v21, 0x358637bd                              // 000000004618: 7E2A02FF 358637BD
	v_max3_f32 v20, |v128|, |v129|, v20                        // 000000004620: D1D30314 04530380
	v_max3_f32 v20, |v130|, |v131|, v20                        // 000000004628: D1D30314 04530782
	v_max3_f32 v21, |v132|, |v133|, v21                        // 000000004630: D1D30315 04570B84
	v_max3_f32 v21, |v134|, |v135|, v21                        // 000000004638: D1D30315 04570F86
	v_max3_f32 v20, |v136|, |v137|, v20                        // 000000004640: D1D30314 04531388
	v_max3_f32 v20, |v138|, |v139|, v20                        // 000000004648: D1D30314 0453178A
	v_max3_f32 v21, |v140|, |v141|, v21                        // 000000004650: D1D30315 04571B8C
	v_max3_f32 v21, |v142|, |v143|, v21                        // 000000004658: D1D30315 04571F8E
	v_max3_f32 v20, |v144|, |v145|, v20                        // 000000004660: D1D30314 04532390
	v_max3_f32 v20, |v146|, |v147|, v20                        // 000000004668: D1D30314 04532792
	v_max3_f32 v21, |v148|, |v149|, v21                        // 000000004670: D1D30315 04572B94
	v_max3_f32 v21, |v150|, |v151|, v21                        // 000000004678: D1D30315 04572F96
	v_max3_f32 v20, |v152|, |v153|, v20                        // 000000004680: D1D30314 04533398
	v_max3_f32 v20, |v154|, |v155|, v20                        // 000000004688: D1D30314 0453379A
	v_max3_f32 v21, |v156|, |v157|, v21                        // 000000004690: D1D30315 04573B9C
	v_max3_f32 v21, |v158|, |v159|, v21                        // 000000004698: D1D30315 04573F9E
	v_lshlrev_b32_e32 v44, 3, v0                               // 0000000046A0: 24580083
	s_mul_i32 s60, 0x200, s7                                   // 0000000046A4: 923C07FF 00000200
	v_add_u32_e32 v44, s60, v44                                // 0000000046AC: 6858583C
	ds_write_b64 v44, v[20:21] offset:16640                    // 0000000046B0: D89A4100 0000142C
	s_waitcnt lgkmcnt(0)                                       // 0000000046B8: BF8CC07F
	s_barrier                                                  // 0000000046BC: BF8A0000
	v_and_b32_e32 v44, 15, v0                                  // 0000000046C0: 2658008F
	v_lshlrev_b32_e32 v44, 3, v44                              // 0000000046C4: 24585883
	ds_read_b64 v[96:97], v44 offset:16640                     // 0000000046C8: D8EC4100 6000002C
	ds_read_b64 v[98:99], v44 offset:16768                     // 0000000046D0: D8EC4180 6200002C
	ds_read_b64 v[100:101], v44 offset:16896                   // 0000000046D8: D8EC4200 6400002C
	ds_read_b64 v[102:103], v44 offset:17024                   // 0000000046E0: D8EC4280 6600002C
	ds_read_b64 v[104:105], v44 offset:17152                   // 0000000046E8: D8EC4300 6800002C
	ds_read_b64 v[106:107], v44 offset:17280                   // 0000000046F0: D8EC4380 6A00002C
	ds_read_b64 v[108:109], v44 offset:17408                   // 0000000046F8: D8EC4400 6C00002C
	ds_read_b64 v[110:111], v44 offset:17536                   // 000000004700: D8EC4480 6E00002C
	ds_read_b64 v[112:113], v44 offset:17664                   // 000000004708: D8EC4500 7000002C
	ds_read_b64 v[114:115], v44 offset:17792                   // 000000004710: D8EC4580 7200002C
	ds_read_b64 v[116:117], v44 offset:17920                   // 000000004718: D8EC4600 7400002C
	ds_read_b64 v[118:119], v44 offset:18048                   // 000000004720: D8EC4680 7600002C
	ds_read_b64 v[120:121], v44 offset:18176                   // 000000004728: D8EC4700 7800002C
	ds_read_b64 v[122:123], v44 offset:18304                   // 000000004730: D8EC4780 7A00002C
	ds_read_b64 v[124:125], v44 offset:18432                   // 000000004738: D8EC4800 7C00002C
	ds_read_b64 v[126:127], v44 offset:18560                   // 000000004740: D8EC4880 7E00002C
	s_waitcnt lgkmcnt(0)                                       // 000000004748: BF8CC07F
	v_max3_f32 v20, |v96|, |v98|, v20                          // 00000000474C: D1D30314 0452C560
	v_max3_f32 v21, |v97|, |v99|, v21                          // 000000004754: D1D30315 0456C761
	v_max3_f32 v20, |v100|, |v102|, v20                        // 00000000475C: D1D30314 0452CD64
	v_max3_f32 v21, |v101|, |v103|, v21                        // 000000004764: D1D30315 0456CF65
	v_max3_f32 v20, |v104|, |v106|, v20                        // 00000000476C: D1D30314 0452D568
	v_max3_f32 v21, |v105|, |v107|, v21                        // 000000004774: D1D30315 0456D769
	v_max3_f32 v20, |v108|, |v110|, v20                        // 00000000477C: D1D30314 0452DD6C
	v_max3_f32 v21, |v109|, |v111|, v21                        // 000000004784: D1D30315 0456DF6D
	v_max3_f32 v20, |v112|, |v114|, v20                        // 00000000478C: D1D30314 0452E570
	v_max3_f32 v21, |v113|, |v115|, v21                        // 000000004794: D1D30315 0456E771
	v_max3_f32 v20, |v116|, |v118|, v20                        // 00000000479C: D1D30314 0452ED74
	v_max3_f32 v21, |v117|, |v119|, v21                        // 0000000047A4: D1D30315 0456EF75
	v_max3_f32 v20, |v120|, |v122|, v20                        // 0000000047AC: D1D30314 0452F578
	v_max3_f32 v21, |v121|, |v123|, v21                        // 0000000047B4: D1D30315 0456F779
	v_max3_f32 v20, |v124|, |v126|, v20                        // 0000000047BC: D1D30314 0452FD7C
	v_max3_f32 v21, |v125|, |v127|, v21                        // 0000000047C4: D1D30315 0456FF7D
	v_rcp_f32_e32 v20, v20                                     // 0000000047CC: 7E284514
	v_rcp_f32_e32 v21, v21                                     // 0000000047D0: 7E2A4515
	v_mul_f32_e32 v20, 0x42fe0000, v20                         // 0000000047D4: 0A2828FF 42FE0000
	v_mul_f32_e32 v21, 0x42fe0000, v21                         // 0000000047DC: 0A2A2AFF 42FE0000
	v_mul_f32_e32 v128, v20, v128                              // 0000000047E4: 0B010114
	v_mul_f32_e32 v129, v20, v129                              // 0000000047E8: 0B030314
	v_mul_f32_e32 v130, v20, v130                              // 0000000047EC: 0B050514
	v_mul_f32_e32 v131, v20, v131                              // 0000000047F0: 0B070714
	v_cvt_i32_f32_e32 v128, v128                               // 0000000047F4: 7F001180
	v_cvt_i32_f32_e32 v129, v129                               // 0000000047F8: 7F021181
	v_cvt_i32_f32_e32 v130, v130                               // 0000000047FC: 7F041182
	v_cvt_i32_f32_e32 v131, v131                               // 000000004800: 7F061183
	v_perm_b32 v128, v129, v128, s53                           // 000000004804: D1ED0080 00D70181
	v_perm_b32 v128, v130, v128, s54                           // 00000000480C: D1ED0080 00DB0182
	v_perm_b32 v128, v131, v128, s55                           // 000000004814: D1ED0080 00DF0183
	v_mul_f32_e32 v132, v21, v132                              // 00000000481C: 0B090915
	v_mul_f32_e32 v133, v21, v133                              // 000000004820: 0B0B0B15
	v_mul_f32_e32 v134, v21, v134                              // 000000004824: 0B0D0D15
	v_mul_f32_e32 v135, v21, v135                              // 000000004828: 0B0F0F15
	v_cvt_i32_f32_e32 v132, v132                               // 00000000482C: 7F081184
	v_cvt_i32_f32_e32 v133, v133                               // 000000004830: 7F0A1185
	v_cvt_i32_f32_e32 v134, v134                               // 000000004834: 7F0C1186
	v_cvt_i32_f32_e32 v135, v135                               // 000000004838: 7F0E1187
	v_perm_b32 v129, v133, v132, s53                           // 00000000483C: D1ED0081 00D70985
	v_perm_b32 v129, v134, v129, s54                           // 000000004844: D1ED0081 00DB0386
	v_perm_b32 v129, v135, v129, s55                           // 00000000484C: D1ED0081 00DF0387
	v_mul_f32_e32 v136, v20, v136                              // 000000004854: 0B111114
	v_mul_f32_e32 v137, v20, v137                              // 000000004858: 0B131314
	v_mul_f32_e32 v138, v20, v138                              // 00000000485C: 0B151514
	v_mul_f32_e32 v139, v20, v139                              // 000000004860: 0B171714
	v_cvt_i32_f32_e32 v136, v136                               // 000000004864: 7F101188
	v_cvt_i32_f32_e32 v137, v137                               // 000000004868: 7F121189
	v_cvt_i32_f32_e32 v138, v138                               // 00000000486C: 7F14118A
	v_cvt_i32_f32_e32 v139, v139                               // 000000004870: 7F16118B
	v_perm_b32 v130, v137, v136, s53                           // 000000004874: D1ED0082 00D71189
	v_perm_b32 v130, v138, v130, s54                           // 00000000487C: D1ED0082 00DB058A
	v_perm_b32 v130, v139, v130, s55                           // 000000004884: D1ED0082 00DF058B
	v_mul_f32_e32 v140, v21, v140                              // 00000000488C: 0B191915
	v_mul_f32_e32 v141, v21, v141                              // 000000004890: 0B1B1B15
	v_mul_f32_e32 v142, v21, v142                              // 000000004894: 0B1D1D15
	v_mul_f32_e32 v143, v21, v143                              // 000000004898: 0B1F1F15
	v_cvt_i32_f32_e32 v140, v140                               // 00000000489C: 7F18118C
	v_cvt_i32_f32_e32 v141, v141                               // 0000000048A0: 7F1A118D
	v_cvt_i32_f32_e32 v142, v142                               // 0000000048A4: 7F1C118E
	v_cvt_i32_f32_e32 v143, v143                               // 0000000048A8: 7F1E118F
	v_perm_b32 v131, v141, v140, s53                           // 0000000048AC: D1ED0083 00D7198D
	v_perm_b32 v131, v142, v131, s54                           // 0000000048B4: D1ED0083 00DB078E
	v_perm_b32 v131, v143, v131, s55                           // 0000000048BC: D1ED0083 00DF078F
	v_mul_f32_e32 v144, v20, v144                              // 0000000048C4: 0B212114
	v_mul_f32_e32 v145, v20, v145                              // 0000000048C8: 0B232314
	v_mul_f32_e32 v146, v20, v146                              // 0000000048CC: 0B252514
	v_mul_f32_e32 v147, v20, v147                              // 0000000048D0: 0B272714
	v_cvt_i32_f32_e32 v144, v144                               // 0000000048D4: 7F201190
	v_cvt_i32_f32_e32 v145, v145                               // 0000000048D8: 7F221191
	v_cvt_i32_f32_e32 v146, v146                               // 0000000048DC: 7F241192
	v_cvt_i32_f32_e32 v147, v147                               // 0000000048E0: 7F261193
	v_perm_b32 v132, v145, v144, s53                           // 0000000048E4: D1ED0084 00D72191
	v_perm_b32 v132, v146, v132, s54                           // 0000000048EC: D1ED0084 00DB0992
	v_perm_b32 v132, v147, v132, s55                           // 0000000048F4: D1ED0084 00DF0993
	v_mul_f32_e32 v148, v21, v148                              // 0000000048FC: 0B292915
	v_mul_f32_e32 v149, v21, v149                              // 000000004900: 0B2B2B15
	v_mul_f32_e32 v150, v21, v150                              // 000000004904: 0B2D2D15
	v_mul_f32_e32 v151, v21, v151                              // 000000004908: 0B2F2F15
	v_cvt_i32_f32_e32 v148, v148                               // 00000000490C: 7F281194
	v_cvt_i32_f32_e32 v149, v149                               // 000000004910: 7F2A1195
	v_cvt_i32_f32_e32 v150, v150                               // 000000004914: 7F2C1196
	v_cvt_i32_f32_e32 v151, v151                               // 000000004918: 7F2E1197
	v_perm_b32 v133, v149, v148, s53                           // 00000000491C: D1ED0085 00D72995
	v_perm_b32 v133, v150, v133, s54                           // 000000004924: D1ED0085 00DB0B96
	v_perm_b32 v133, v151, v133, s55                           // 00000000492C: D1ED0085 00DF0B97
	v_mul_f32_e32 v152, v20, v152                              // 000000004934: 0B313114
	v_mul_f32_e32 v153, v20, v153                              // 000000004938: 0B333314
	v_mul_f32_e32 v154, v20, v154                              // 00000000493C: 0B353514
	v_mul_f32_e32 v155, v20, v155                              // 000000004940: 0B373714
	v_cvt_i32_f32_e32 v152, v152                               // 000000004944: 7F301198
	v_cvt_i32_f32_e32 v153, v153                               // 000000004948: 7F321199
	v_cvt_i32_f32_e32 v154, v154                               // 00000000494C: 7F34119A
	v_cvt_i32_f32_e32 v155, v155                               // 000000004950: 7F36119B
	v_perm_b32 v134, v153, v152, s53                           // 000000004954: D1ED0086 00D73199
	v_perm_b32 v134, v154, v134, s54                           // 00000000495C: D1ED0086 00DB0D9A
	v_perm_b32 v134, v155, v134, s55                           // 000000004964: D1ED0086 00DF0D9B
	v_mul_f32_e32 v156, v21, v156                              // 00000000496C: 0B393915
	v_mul_f32_e32 v157, v21, v157                              // 000000004970: 0B3B3B15
	v_mul_f32_e32 v158, v21, v158                              // 000000004974: 0B3D3D15
	v_mul_f32_e32 v159, v21, v159                              // 000000004978: 0B3F3F15
	v_cvt_i32_f32_e32 v156, v156                               // 00000000497C: 7F38119C
	v_cvt_i32_f32_e32 v157, v157                               // 000000004980: 7F3A119D
	v_cvt_i32_f32_e32 v158, v158                               // 000000004984: 7F3C119E
	v_cvt_i32_f32_e32 v159, v159                               // 000000004988: 7F3E119F
	v_perm_b32 v135, v157, v156, s53                           // 00000000498C: D1ED0087 00D7399D
	v_perm_b32 v135, v158, v135, s54                           // 000000004994: D1ED0087 00DB0F9E
	v_perm_b32 v135, v159, v135, s55                           // 00000000499C: D1ED0087 00DF0F9F
	v_rcp_f32_e32 v22, v20                                     // 0000000049A4: 7E2C4514
	v_rcp_f32_e32 v23, v21                                     // 0000000049A8: 7E2E4515
	v_lshrrev_b32_e32 v44, 5, v0                               // 0000000049AC: 20580085
	v_lshlrev_b32_e32 v45, 5, v44                              // 0000000049B0: 245A5885
	v_and_b32_e32 v44, 31, v0                                  // 0000000049B4: 2658009F
	v_lshrrev_b32_e32 v46, 4, v44                              // 0000000049B8: 205C5884
	v_add_u32_e32 v45, v46, v45                                // 0000000049BC: 685A5B2E
	v_and_b32_e32 v44, 15, v0                                  // 0000000049C0: 2658008F
	v_lshlrev_b32_e32 v44, 1, v44                              // 0000000049C4: 24585881
	v_add_u32_e32 v45, v44, v45                                // 0000000049C8: 685A5B2C
	v_lshlrev_b32_e32 v44, 2, v45                              // 0000000049CC: 24585A82
	s_mul_i32 s60, 0x100, s7                                   // 0000000049D0: 923C07FF 00000100
	v_add_u32_e64 v44, v44, s60                                // 0000000049D8: D134002C 0000792C
	ds_write_b32 v44, v128 offset:18688                        // 0000000049E0: D81A4900 0000802C
	ds_write_b32 v44, v129 offset:22784                        // 0000000049E8: D81A5900 0000812C
	ds_write_b32 v44, v130 offset:19712                        // 0000000049F0: D81A4D00 0000822C
	ds_write_b32 v44, v131 offset:23808                        // 0000000049F8: D81A5D00 0000832C
	ds_write_b32 v44, v132 offset:20736                        // 000000004A00: D81A5100 0000842C
	ds_write_b32 v44, v133 offset:24832                        // 000000004A08: D81A6100 0000852C
	ds_write_b32 v44, v134 offset:21760                        // 000000004A10: D81A5500 0000862C
	ds_write_b32 v44, v135 offset:25856                        // 000000004A18: D81A6500 0000872C
	s_waitcnt lgkmcnt(0)                                       // 000000004A20: BF8CC07F
	s_barrier                                                  // 000000004A24: BF8A0000
	v_lshrrev_b32_e32 v44, 4, v0                               // 000000004A28: 20580084
	v_lshlrev_b32_e32 v45, 6, v44                              // 000000004A2C: 245A5886
	v_and_b32_e32 v44, 15, v0                                  // 000000004A30: 2658008F
	v_lshlrev_b32_e32 v44, 1, v44                              // 000000004A34: 24585881
	v_add_u32_e32 v45, v44, v45                                // 000000004A38: 685A5B2C
	v_lshlrev_b32_e32 v44, 2, v45                              // 000000004A3C: 24585A82
	ds_read_b64 v[128:129], v44 offset:18688                   // 000000004A40: D8EC4900 8000002C
	ds_read_b64 v[130:131], v44 offset:18816                   // 000000004A48: D8EC4980 8200002C
	ds_read_b64 v[132:133], v44 offset:19712                   // 000000004A50: D8EC4D00 8400002C
	ds_read_b64 v[134:135], v44 offset:19840                   // 000000004A58: D8EC4D80 8600002C
	ds_read_b64 v[136:137], v44 offset:20736                   // 000000004A60: D8EC5100 8800002C
	ds_read_b64 v[138:139], v44 offset:20864                   // 000000004A68: D8EC5180 8A00002C
	ds_read_b64 v[140:141], v44 offset:21760                   // 000000004A70: D8EC5500 8C00002C
	ds_read_b64 v[142:143], v44 offset:21888                   // 000000004A78: D8EC5580 8E00002C
	ds_read_b64 v[144:145], v44 offset:22784                   // 000000004A80: D8EC5900 9000002C
	ds_read_b64 v[146:147], v44 offset:22912                   // 000000004A88: D8EC5980 9200002C
	ds_read_b64 v[148:149], v44 offset:23808                   // 000000004A90: D8EC5D00 9400002C
	ds_read_b64 v[150:151], v44 offset:23936                   // 000000004A98: D8EC5D80 9600002C
	ds_read_b64 v[152:153], v44 offset:24832                   // 000000004AA0: D8EC6100 9800002C
	ds_read_b64 v[154:155], v44 offset:24960                   // 000000004AA8: D8EC6180 9A00002C
	ds_read_b64 v[156:157], v44 offset:25856                   // 000000004AB0: D8EC6500 9C00002C
	ds_read_b64 v[158:159], v44 offset:25984                   // 000000004AB8: D8EC6580 9E00002C
	s_add_u32 s12, s56, s12                                    // 000000004AC0: 800C0C38
	s_addc_u32 s13, 0, s13                                     // 000000004AC4: 820D0D80
	s_add_u32 s16, s79, s16                                    // 000000004AC8: 8010104F
	s_addc_u32 s17, 0, s17                                     // 000000004ACC: 82111180
	s_mov_b32 s80, 0                                           // 000000004AD0: BED00080
	s_waitcnt vmcnt(0) expcnt(0) lgkmcnt(0)                    // 000000004AD4: BF8C0000

0000000000004ad8 <label_0736>:
	s_waitcnt vmcnt(29)                                        // 000000004AD8: BF8C4F7D
	s_barrier                                                  // 000000004ADC: BF8A0000
	v_mfma_i32_16x16x32_i8 v[160:163], a[0:1], v[128:129], 0   // 000000004AE0: D3D700A0 0A030100
	v_mfma_i32_16x16x32_i8 v[160:163], a[2:3], v[130:131], v[160:163]// 000000004AE8: D3D700A0 0E830502
	buffer_load_dwordx4 a[64:67], v36, s[12:15], 0 offen       // 000000004AF0: E05C1000 80834024
	v_mfma_i32_16x16x32_i8 v[164:167], a[0:1], v[144:145], 0   // 000000004AF8: D3D700A4 0A032100
	v_mfma_i32_16x16x32_i8 v[164:167], a[2:3], v[146:147], v[164:167]// 000000004B00: D3D700A4 0E932502
	v_mfma_i32_16x16x32_i8 v[168:171], a[4:5], v[128:129], 0   // 000000004B08: D3D700A8 0A030104
	v_mfma_i32_16x16x32_i8 v[168:171], a[6:7], v[130:131], v[168:171]// 000000004B10: D3D700A8 0EA30506
	buffer_load_dwordx4 a[68:71], v37, s[12:15], 0 offen       // 000000004B18: E05C1000 80834425
	v_mfma_i32_16x16x32_i8 v[172:175], a[4:5], v[144:145], 0   // 000000004B20: D3D700AC 0A032104
	v_mfma_i32_16x16x32_i8 v[172:175], a[6:7], v[146:147], v[172:175]// 000000004B28: D3D700AC 0EB32506
	v_mfma_i32_16x16x32_i8 v[176:179], a[8:9], v[128:129], 0   // 000000004B30: D3D700B0 0A030108
	v_mfma_i32_16x16x32_i8 v[176:179], a[10:11], v[130:131], v[176:179]// 000000004B38: D3D700B0 0EC3050A
	buffer_load_dwordx4 a[72:75], v38, s[12:15], 0 offen       // 000000004B40: E05C1000 80834826
	v_mfma_i32_16x16x32_i8 v[180:183], a[8:9], v[144:145], 0   // 000000004B48: D3D700B4 0A032108
	v_mfma_i32_16x16x32_i8 v[180:183], a[10:11], v[146:147], v[180:183]// 000000004B50: D3D700B4 0ED3250A
	v_mfma_i32_16x16x32_i8 v[184:187], a[12:13], v[128:129], 0 // 000000004B58: D3D700B8 0A03010C
	v_mfma_i32_16x16x32_i8 v[184:187], a[14:15], v[130:131], v[184:187]// 000000004B60: D3D700B8 0EE3050E
	buffer_load_dwordx4 a[76:79], v39, s[12:15], 0 offen       // 000000004B68: E05C1000 80834C27
	s_add_u32 s12, s78, s12                                    // 000000004B70: 800C0C4E
	s_addc_u32 s13, 0, s13                                     // 000000004B74: 820D0D80
	v_mfma_i32_16x16x32_i8 v[188:191], a[12:13], v[144:145], 0 // 000000004B78: D3D700BC 0A03210C
	v_mfma_i32_16x16x32_i8 v[188:191], a[14:15], v[146:147], v[188:191]// 000000004B80: D3D700BC 0EF3250E
	s_waitcnt vmcnt(29)                                        // 000000004B88: BF8C4F7D
	v_mfma_i32_16x16x32_i8 v[160:163], a[16:17], v[132:133], v[160:163]// 000000004B8C: D3D700A0 0E830910
	v_mfma_i32_16x16x32_i8 v[160:163], a[18:19], v[134:135], v[160:163]// 000000004B94: D3D700A0 0E830D12
	buffer_load_dwordx4 a[80:83], v36, s[12:15], 0 offen       // 000000004B9C: E05C1000 80835024
	v_mfma_i32_16x16x32_i8 v[164:167], a[16:17], v[148:149], v[164:167]// 000000004BA4: D3D700A4 0E932910
	v_mfma_i32_16x16x32_i8 v[164:167], a[18:19], v[150:151], v[164:167]// 000000004BAC: D3D700A4 0E932D12
	v_mfma_i32_16x16x32_i8 v[168:171], a[20:21], v[132:133], v[168:171]// 000000004BB4: D3D700A8 0EA30914
	v_mfma_i32_16x16x32_i8 v[168:171], a[22:23], v[134:135], v[168:171]// 000000004BBC: D3D700A8 0EA30D16
	buffer_load_dwordx4 a[84:87], v37, s[12:15], 0 offen       // 000000004BC4: E05C1000 80835425
	v_mfma_i32_16x16x32_i8 v[172:175], a[20:21], v[148:149], v[172:175]// 000000004BCC: D3D700AC 0EB32914
	v_mfma_i32_16x16x32_i8 v[172:175], a[22:23], v[150:151], v[172:175]// 000000004BD4: D3D700AC 0EB32D16
	v_mfma_i32_16x16x32_i8 v[176:179], a[24:25], v[132:133], v[176:179]// 000000004BDC: D3D700B0 0EC30918
	v_mfma_i32_16x16x32_i8 v[176:179], a[26:27], v[134:135], v[176:179]// 000000004BE4: D3D700B0 0EC30D1A
	buffer_load_dwordx4 a[88:91], v38, s[12:15], 0 offen       // 000000004BEC: E05C1000 80835826
	v_mfma_i32_16x16x32_i8 v[180:183], a[24:25], v[148:149], v[180:183]// 000000004BF4: D3D700B4 0ED32918
	v_mfma_i32_16x16x32_i8 v[180:183], a[26:27], v[150:151], v[180:183]// 000000004BFC: D3D700B4 0ED32D1A
	v_mfma_i32_16x16x32_i8 v[184:187], a[28:29], v[132:133], v[184:187]// 000000004C04: D3D700B8 0EE3091C
	v_mfma_i32_16x16x32_i8 v[184:187], a[30:31], v[134:135], v[184:187]// 000000004C0C: D3D700B8 0EE30D1E
	buffer_load_dwordx4 a[92:95], v39, s[12:15], 0 offen       // 000000004C14: E05C1000 80835C27
	s_add_u32 s12, s78, s12                                    // 000000004C1C: 800C0C4E
	s_addc_u32 s13, 0, s13                                     // 000000004C20: 820D0D80
	v_mfma_i32_16x16x32_i8 v[188:191], a[28:29], v[148:149], v[188:191]// 000000004C24: D3D700BC 0EF3291C
	v_mfma_i32_16x16x32_i8 v[188:191], a[30:31], v[150:151], v[188:191]// 000000004C2C: D3D700BC 0EF32D1E
	s_waitcnt vmcnt(29)                                        // 000000004C34: BF8C4F7D
	v_mfma_i32_16x16x32_i8 v[160:163], a[32:33], v[136:137], v[160:163]// 000000004C38: D3D700A0 0E831120
	v_mfma_i32_16x16x32_i8 v[160:163], a[34:35], v[138:139], v[160:163]// 000000004C40: D3D700A0 0E831522
	buffer_load_dwordx4 a[96:99], v36, s[12:15], 0 offen       // 000000004C48: E05C1000 80836024
	v_mfma_i32_16x16x32_i8 v[164:167], a[32:33], v[152:153], v[164:167]// 000000004C50: D3D700A4 0E933120
	v_mfma_i32_16x16x32_i8 v[164:167], a[34:35], v[154:155], v[164:167]// 000000004C58: D3D700A4 0E933522
	v_mfma_i32_16x16x32_i8 v[168:171], a[36:37], v[136:137], v[168:171]// 000000004C60: D3D700A8 0EA31124
	v_mfma_i32_16x16x32_i8 v[168:171], a[38:39], v[138:139], v[168:171]// 000000004C68: D3D700A8 0EA31526
	buffer_load_dwordx4 a[100:103], v37, s[12:15], 0 offen     // 000000004C70: E05C1000 80836425
	v_mfma_i32_16x16x32_i8 v[172:175], a[36:37], v[152:153], v[172:175]// 000000004C78: D3D700AC 0EB33124
	v_mfma_i32_16x16x32_i8 v[172:175], a[38:39], v[154:155], v[172:175]// 000000004C80: D3D700AC 0EB33526
	v_mfma_i32_16x16x32_i8 v[176:179], a[40:41], v[136:137], v[176:179]// 000000004C88: D3D700B0 0EC31128
	v_mfma_i32_16x16x32_i8 v[176:179], a[42:43], v[138:139], v[176:179]// 000000004C90: D3D700B0 0EC3152A
	buffer_load_dwordx4 a[104:107], v38, s[12:15], 0 offen     // 000000004C98: E05C1000 80836826
	v_mfma_i32_16x16x32_i8 v[180:183], a[40:41], v[152:153], v[180:183]// 000000004CA0: D3D700B4 0ED33128
	v_mfma_i32_16x16x32_i8 v[180:183], a[42:43], v[154:155], v[180:183]// 000000004CA8: D3D700B4 0ED3352A
	v_mfma_i32_16x16x32_i8 v[184:187], a[44:45], v[136:137], v[184:187]// 000000004CB0: D3D700B8 0EE3112C
	v_mfma_i32_16x16x32_i8 v[184:187], a[46:47], v[138:139], v[184:187]// 000000004CB8: D3D700B8 0EE3152E
	buffer_load_dwordx4 a[108:111], v39, s[12:15], 0 offen     // 000000004CC0: E05C1000 80836C27
	s_add_u32 s12, s78, s12                                    // 000000004CC8: 800C0C4E
	s_addc_u32 s13, 0, s13                                     // 000000004CCC: 820D0D80
	v_mfma_i32_16x16x32_i8 v[188:191], a[44:45], v[152:153], v[188:191]// 000000004CD0: D3D700BC 0EF3312C
	v_mfma_i32_16x16x32_i8 v[188:191], a[46:47], v[154:155], v[188:191]// 000000004CD8: D3D700BC 0EF3352E
	s_waitcnt vmcnt(28)                                        // 000000004CE0: BF8C4F7C
	v_mfma_i32_16x16x32_i8 v[160:163], a[48:49], v[140:141], v[160:163]// 000000004CE4: D3D700A0 0E831930
	v_mfma_i32_16x16x32_i8 v[160:163], a[50:51], v[142:143], v[160:163]// 000000004CEC: D3D700A0 0E831D32
	buffer_load_dwordx4 a[112:115], v36, s[12:15], 0 offen     // 000000004CF4: E05C1000 80837024
	v_mfma_i32_16x16x32_i8 v[164:167], a[48:49], v[156:157], v[164:167]// 000000004CFC: D3D700A4 0E933930
	v_mfma_i32_16x16x32_i8 v[164:167], a[50:51], v[158:159], v[164:167]// 000000004D04: D3D700A4 0E933D32
	buffer_load_dword v12, v5, s[16:19], 0 offen               // 000000004D0C: E0501000 80040C05
	v_mfma_i32_16x16x32_i8 v[168:171], a[52:53], v[140:141], v[168:171]// 000000004D14: D3D700A8 0EA31934
	v_mfma_i32_16x16x32_i8 v[168:171], a[54:55], v[142:143], v[168:171]// 000000004D1C: D3D700A8 0EA31D36
	buffer_load_dwordx4 a[116:119], v37, s[12:15], 0 offen     // 000000004D24: E05C1000 80837425
	v_mfma_i32_16x16x32_i8 v[172:175], a[52:53], v[156:157], v[172:175]// 000000004D2C: D3D700AC 0EB33934
	v_mfma_i32_16x16x32_i8 v[172:175], a[54:55], v[158:159], v[172:175]// 000000004D34: D3D700AC 0EB33D36
	v_mfma_i32_16x16x32_i8 v[176:179], a[56:57], v[140:141], v[176:179]// 000000004D3C: D3D700B0 0EC31938
	v_mfma_i32_16x16x32_i8 v[176:179], a[58:59], v[142:143], v[176:179]// 000000004D44: D3D700B0 0EC31D3A
	buffer_load_dwordx4 a[120:123], v38, s[12:15], 0 offen     // 000000004D4C: E05C1000 80837826
	v_mfma_i32_16x16x32_i8 v[180:183], a[56:57], v[156:157], v[180:183]// 000000004D54: D3D700B4 0ED33938
	v_mfma_i32_16x16x32_i8 v[180:183], a[58:59], v[158:159], v[180:183]// 000000004D5C: D3D700B4 0ED33D3A
	v_mfma_i32_16x16x32_i8 v[184:187], a[60:61], v[140:141], v[184:187]// 000000004D64: D3D700B8 0EE3193C
	v_mfma_i32_16x16x32_i8 v[184:187], a[62:63], v[142:143], v[184:187]// 000000004D6C: D3D700B8 0EE31D3E
	buffer_load_dwordx4 a[124:127], v39, s[12:15], 0 offen     // 000000004D74: E05C1000 80837C27
	v_mfma_i32_16x16x32_i8 v[188:191], a[60:61], v[156:157], v[188:191]// 000000004D7C: D3D700BC 0EF3393C
	v_mfma_i32_16x16x32_i8 v[188:191], a[62:63], v[158:159], v[188:191]// 000000004D84: D3D700BC 0EF33D3E
	s_add_u32 s60, 0x200, s80                                  // 000000004D8C: 803C50FF 00000200
	s_cmp_lt_u32 s60, s81                                      // 000000004D94: BF0A513C
	s_cselect_b32 s56, s56, 0                                  // 000000004D98: 85388038
	s_cselect_b32 s78, s78, 0                                  // 000000004D9C: 854E804E
	s_cselect_b32 s79, s79, 0                                  // 000000004DA0: 854F804F
	s_add_u32 s12, s56, s12                                    // 000000004DA4: 800C0C38
	s_addc_u32 s13, 0, s13                                     // 000000004DA8: 820D0D80
	s_add_u32 s16, s79, s16                                    // 000000004DAC: 8010104F
	s_addc_u32 s17, 0, s17                                     // 000000004DB0: 82111180
	v_cvt_f32_i32_e32 v160, v160                               // 000000004DB4: 7F400BA0
	v_cvt_f32_i32_e32 v161, v161                               // 000000004DB8: 7F420BA1
	v_cvt_f32_i32_e32 v162, v162                               // 000000004DBC: 7F440BA2
	v_cvt_f32_i32_e32 v163, v163                               // 000000004DC0: 7F460BA3
	v_mul_f32_e32 v160, v22, v160                              // 000000004DC4: 0B414116
	v_mul_f32_e32 v161, v22, v161                              // 000000004DC8: 0B434316
	v_mul_f32_e32 v162, v22, v162                              // 000000004DCC: 0B454516
	v_mul_f32_e32 v163, v22, v163                              // 000000004DD0: 0B474716
	v_mul_f32_dpp v160, v11, v160 row_newbcast:0 row_mask:0xf bank_mask:0xf// 000000004DD4: 0B4140FA FF01500B
	v_mul_f32_dpp v161, v11, v161 row_newbcast:1 row_mask:0xf bank_mask:0xf// 000000004DDC: 0B4342FA FF01510B
	v_mul_f32_dpp v162, v11, v162 row_newbcast:2 row_mask:0xf bank_mask:0xf// 000000004DE4: 0B4544FA FF01520B
	v_mul_f32_dpp v163, v11, v163 row_newbcast:3 row_mask:0xf bank_mask:0xf// 000000004DEC: 0B4746FA FF01530B
	v_mul_f32_e32 v160, v17, v160                              // 000000004DF4: 0B414111
	v_mul_f32_e32 v161, v17, v161                              // 000000004DF8: 0B434311
	v_mul_f32_e32 v162, v17, v162                              // 000000004DFC: 0B454511
	v_mul_f32_e32 v163, v17, v163                              // 000000004E00: 0B474711
	v_cvt_f32_i32_e32 v164, v164                               // 000000004E04: 7F480BA4
	v_cvt_f32_i32_e32 v165, v165                               // 000000004E08: 7F4A0BA5
	v_cvt_f32_i32_e32 v166, v166                               // 000000004E0C: 7F4C0BA6
	v_cvt_f32_i32_e32 v167, v167                               // 000000004E10: 7F4E0BA7
	v_mul_f32_e32 v164, v23, v164                              // 000000004E14: 0B494917
	v_mul_f32_e32 v165, v23, v165                              // 000000004E18: 0B4B4B17
	v_mul_f32_e32 v166, v23, v166                              // 000000004E1C: 0B4D4D17
	v_mul_f32_e32 v167, v23, v167                              // 000000004E20: 0B4F4F17
	v_mul_f32_dpp v164, v11, v164 row_newbcast:0 row_mask:0xf bank_mask:0xf// 000000004E24: 0B4948FA FF01500B
	v_mul_f32_dpp v165, v11, v165 row_newbcast:1 row_mask:0xf bank_mask:0xf// 000000004E2C: 0B4B4AFA FF01510B
	v_mul_f32_dpp v166, v11, v166 row_newbcast:2 row_mask:0xf bank_mask:0xf// 000000004E34: 0B4D4CFA FF01520B
	v_mul_f32_dpp v167, v11, v167 row_newbcast:3 row_mask:0xf bank_mask:0xf// 000000004E3C: 0B4F4EFA FF01530B
	v_mul_f32_e32 v164, v18, v164                              // 000000004E44: 0B494912
	v_mul_f32_e32 v165, v18, v165                              // 000000004E48: 0B4B4B12
	v_mul_f32_e32 v166, v18, v166                              // 000000004E4C: 0B4D4D12
	v_mul_f32_e32 v167, v18, v167                              // 000000004E50: 0B4F4F12
	v_cvt_f32_i32_e32 v168, v168                               // 000000004E54: 7F500BA8
	v_cvt_f32_i32_e32 v169, v169                               // 000000004E58: 7F520BA9
	v_cvt_f32_i32_e32 v170, v170                               // 000000004E5C: 7F540BAA
	v_cvt_f32_i32_e32 v171, v171                               // 000000004E60: 7F560BAB
	v_mul_f32_e32 v168, v22, v168                              // 000000004E64: 0B515116
	v_mul_f32_e32 v169, v22, v169                              // 000000004E68: 0B535316
	v_mul_f32_e32 v170, v22, v170                              // 000000004E6C: 0B555516
	v_mul_f32_e32 v171, v22, v171                              // 000000004E70: 0B575716
	v_mul_f32_dpp v168, v11, v168 row_newbcast:4 row_mask:0xf bank_mask:0xf// 000000004E74: 0B5150FA FF01540B
	v_mul_f32_dpp v169, v11, v169 row_newbcast:5 row_mask:0xf bank_mask:0xf// 000000004E7C: 0B5352FA FF01550B
	v_mul_f32_dpp v170, v11, v170 row_newbcast:6 row_mask:0xf bank_mask:0xf// 000000004E84: 0B5554FA FF01560B
	v_mul_f32_dpp v171, v11, v171 row_newbcast:7 row_mask:0xf bank_mask:0xf// 000000004E8C: 0B5756FA FF01570B
	v_mul_f32_e32 v168, v17, v168                              // 000000004E94: 0B515111
	v_mul_f32_e32 v169, v17, v169                              // 000000004E98: 0B535311
	v_mul_f32_e32 v170, v17, v170                              // 000000004E9C: 0B555511
	v_mul_f32_e32 v171, v17, v171                              // 000000004EA0: 0B575711
	v_cvt_f32_i32_e32 v172, v172                               // 000000004EA4: 7F580BAC
	v_cvt_f32_i32_e32 v173, v173                               // 000000004EA8: 7F5A0BAD
	v_cvt_f32_i32_e32 v174, v174                               // 000000004EAC: 7F5C0BAE
	v_cvt_f32_i32_e32 v175, v175                               // 000000004EB0: 7F5E0BAF
	v_mul_f32_e32 v172, v23, v172                              // 000000004EB4: 0B595917
	v_mul_f32_e32 v173, v23, v173                              // 000000004EB8: 0B5B5B17
	v_mul_f32_e32 v174, v23, v174                              // 000000004EBC: 0B5D5D17
	v_mul_f32_e32 v175, v23, v175                              // 000000004EC0: 0B5F5F17
	v_mul_f32_dpp v172, v11, v172 row_newbcast:4 row_mask:0xf bank_mask:0xf// 000000004EC4: 0B5958FA FF01540B
	v_mul_f32_dpp v173, v11, v173 row_newbcast:5 row_mask:0xf bank_mask:0xf// 000000004ECC: 0B5B5AFA FF01550B
	v_mul_f32_dpp v174, v11, v174 row_newbcast:6 row_mask:0xf bank_mask:0xf// 000000004ED4: 0B5D5CFA FF01560B
	v_mul_f32_dpp v175, v11, v175 row_newbcast:7 row_mask:0xf bank_mask:0xf// 000000004EDC: 0B5F5EFA FF01570B
	v_mul_f32_e32 v172, v18, v172                              // 000000004EE4: 0B595912
	v_mul_f32_e32 v173, v18, v173                              // 000000004EE8: 0B5B5B12
	v_mul_f32_e32 v174, v18, v174                              // 000000004EEC: 0B5D5D12
	v_mul_f32_e32 v175, v18, v175                              // 000000004EF0: 0B5F5F12
	v_cvt_f32_i32_e32 v176, v176                               // 000000004EF4: 7F600BB0
	v_cvt_f32_i32_e32 v177, v177                               // 000000004EF8: 7F620BB1
	v_cvt_f32_i32_e32 v178, v178                               // 000000004EFC: 7F640BB2
	v_cvt_f32_i32_e32 v179, v179                               // 000000004F00: 7F660BB3
	v_mul_f32_e32 v176, v22, v176                              // 000000004F04: 0B616116
	v_mul_f32_e32 v177, v22, v177                              // 000000004F08: 0B636316
	v_mul_f32_e32 v178, v22, v178                              // 000000004F0C: 0B656516
	v_mul_f32_e32 v179, v22, v179                              // 000000004F10: 0B676716
	v_mul_f32_dpp v176, v11, v176 row_newbcast:8 row_mask:0xf bank_mask:0xf// 000000004F14: 0B6160FA FF01580B
	v_mul_f32_dpp v177, v11, v177 row_newbcast:9 row_mask:0xf bank_mask:0xf// 000000004F1C: 0B6362FA FF01590B
	v_mul_f32_dpp v178, v11, v178 row_newbcast:10 row_mask:0xf bank_mask:0xf// 000000004F24: 0B6564FA FF015A0B
	v_mul_f32_dpp v179, v11, v179 row_newbcast:11 row_mask:0xf bank_mask:0xf// 000000004F2C: 0B6766FA FF015B0B
	v_mul_f32_e32 v176, v17, v176                              // 000000004F34: 0B616111
	v_mul_f32_e32 v177, v17, v177                              // 000000004F38: 0B636311
	v_mul_f32_e32 v178, v17, v178                              // 000000004F3C: 0B656511
	v_mul_f32_e32 v179, v17, v179                              // 000000004F40: 0B676711
	v_cvt_f32_i32_e32 v180, v180                               // 000000004F44: 7F680BB4
	v_cvt_f32_i32_e32 v181, v181                               // 000000004F48: 7F6A0BB5
	v_cvt_f32_i32_e32 v182, v182                               // 000000004F4C: 7F6C0BB6
	v_cvt_f32_i32_e32 v183, v183                               // 000000004F50: 7F6E0BB7
	v_mul_f32_e32 v180, v23, v180                              // 000000004F54: 0B696917
	v_mul_f32_e32 v181, v23, v181                              // 000000004F58: 0B6B6B17
	v_mul_f32_e32 v182, v23, v182                              // 000000004F5C: 0B6D6D17
	v_mul_f32_e32 v183, v23, v183                              // 000000004F60: 0B6F6F17
	v_mul_f32_dpp v180, v11, v180 row_newbcast:8 row_mask:0xf bank_mask:0xf// 000000004F64: 0B6968FA FF01580B
	v_mul_f32_dpp v181, v11, v181 row_newbcast:9 row_mask:0xf bank_mask:0xf// 000000004F6C: 0B6B6AFA FF01590B
	v_mul_f32_dpp v182, v11, v182 row_newbcast:10 row_mask:0xf bank_mask:0xf// 000000004F74: 0B6D6CFA FF015A0B
	v_mul_f32_dpp v183, v11, v183 row_newbcast:11 row_mask:0xf bank_mask:0xf// 000000004F7C: 0B6F6EFA FF015B0B
	v_mul_f32_e32 v180, v18, v180                              // 000000004F84: 0B696912
	v_mul_f32_e32 v181, v18, v181                              // 000000004F88: 0B6B6B12
	v_mul_f32_e32 v182, v18, v182                              // 000000004F8C: 0B6D6D12
	v_mul_f32_e32 v183, v18, v183                              // 000000004F90: 0B6F6F12
	v_cvt_f32_i32_e32 v184, v184                               // 000000004F94: 7F700BB8
	v_cvt_f32_i32_e32 v185, v185                               // 000000004F98: 7F720BB9
	v_cvt_f32_i32_e32 v186, v186                               // 000000004F9C: 7F740BBA
	v_cvt_f32_i32_e32 v187, v187                               // 000000004FA0: 7F760BBB
	v_mul_f32_e32 v184, v22, v184                              // 000000004FA4: 0B717116
	v_mul_f32_e32 v185, v22, v185                              // 000000004FA8: 0B737316
	v_mul_f32_e32 v186, v22, v186                              // 000000004FAC: 0B757516
	v_mul_f32_e32 v187, v22, v187                              // 000000004FB0: 0B777716
	v_mul_f32_dpp v184, v11, v184 row_newbcast:12 row_mask:0xf bank_mask:0xf// 000000004FB4: 0B7170FA FF015C0B
	v_mul_f32_dpp v185, v11, v185 row_newbcast:13 row_mask:0xf bank_mask:0xf// 000000004FBC: 0B7372FA FF015D0B
	v_mul_f32_dpp v186, v11, v186 row_newbcast:14 row_mask:0xf bank_mask:0xf// 000000004FC4: 0B7574FA FF015E0B
	v_mul_f32_dpp v187, v11, v187 row_newbcast:15 row_mask:0xf bank_mask:0xf// 000000004FCC: 0B7776FA FF015F0B
	v_mul_f32_e32 v184, v17, v184                              // 000000004FD4: 0B717111
	v_mul_f32_e32 v185, v17, v185                              // 000000004FD8: 0B737311
	v_mul_f32_e32 v186, v17, v186                              // 000000004FDC: 0B757511
	v_mul_f32_e32 v187, v17, v187                              // 000000004FE0: 0B777711
	v_cvt_f32_i32_e32 v188, v188                               // 000000004FE4: 7F780BBC
	v_cvt_f32_i32_e32 v189, v189                               // 000000004FE8: 7F7A0BBD
	v_cvt_f32_i32_e32 v190, v190                               // 000000004FEC: 7F7C0BBE
	v_cvt_f32_i32_e32 v191, v191                               // 000000004FF0: 7F7E0BBF
	v_mul_f32_e32 v188, v23, v188                              // 000000004FF4: 0B797917
	v_mul_f32_e32 v189, v23, v189                              // 000000004FF8: 0B7B7B17
	v_mul_f32_e32 v190, v23, v190                              // 000000004FFC: 0B7D7D17
	v_mul_f32_e32 v191, v23, v191                              // 000000005000: 0B7F7F17
	v_mul_f32_dpp v188, v11, v188 row_newbcast:12 row_mask:0xf bank_mask:0xf// 000000005004: 0B7978FA FF015C0B
	v_mul_f32_dpp v189, v11, v189 row_newbcast:13 row_mask:0xf bank_mask:0xf// 00000000500C: 0B7B7AFA FF015D0B
	v_mul_f32_dpp v190, v11, v190 row_newbcast:14 row_mask:0xf bank_mask:0xf// 000000005014: 0B7D7CFA FF015E0B
	v_mul_f32_dpp v191, v11, v191 row_newbcast:15 row_mask:0xf bank_mask:0xf// 00000000501C: 0B7F7EFA FF015F0B
	v_mul_f32_e32 v188, v18, v188                              // 000000005024: 0B797912
	v_mul_f32_e32 v189, v18, v189                              // 000000005028: 0B7B7B12
	v_mul_f32_e32 v190, v18, v190                              // 00000000502C: 0B7D7D12
	v_mul_f32_e32 v191, v18, v191                              // 000000005030: 0B7F7F12
	v_cvt_pkrtz_f16_f32 v160, v160, v161                       // 000000005034: D29600A0 000343A0
	v_cvt_pkrtz_f16_f32 v161, v162, v163                       // 00000000503C: D29600A1 000347A2
	v_cvt_pkrtz_f16_f32 v162, v164, v165                       // 000000005044: D29600A2 00034BA4
	v_cvt_pkrtz_f16_f32 v163, v166, v167                       // 00000000504C: D29600A3 00034FA6
	v_cvt_pkrtz_f16_f32 v164, v168, v169                       // 000000005054: D29600A4 000353A8
	v_cvt_pkrtz_f16_f32 v165, v170, v171                       // 00000000505C: D29600A5 000357AA
	v_cvt_pkrtz_f16_f32 v166, v172, v173                       // 000000005064: D29600A6 00035BAC
	v_cvt_pkrtz_f16_f32 v167, v174, v175                       // 00000000506C: D29600A7 00035FAE
	v_cvt_pkrtz_f16_f32 v168, v176, v177                       // 000000005074: D29600A8 000363B0
	v_cvt_pkrtz_f16_f32 v169, v178, v179                       // 00000000507C: D29600A9 000367B2
	v_cvt_pkrtz_f16_f32 v170, v180, v181                       // 000000005084: D29600AA 00036BB4
	v_cvt_pkrtz_f16_f32 v171, v182, v183                       // 00000000508C: D29600AB 00036FB6
	v_cvt_pkrtz_f16_f32 v172, v184, v185                       // 000000005094: D29600AC 000373B8
	v_cvt_pkrtz_f16_f32 v173, v186, v187                       // 00000000509C: D29600AD 000377BA
	v_cvt_pkrtz_f16_f32 v174, v188, v189                       // 0000000050A4: D29600AE 00037BBC
	v_cvt_pkrtz_f16_f32 v175, v190, v191                       // 0000000050AC: D29600AF 00037FBE
	ds_write_b64 v3, v[160:161] offset:26880                   // 0000000050B4: D89A6900 0000A003
	ds_write_b64 v3, v[162:163] offset:35584                   // 0000000050BC: D89A8B00 0000A203
	ds_write_b64 v3, v[164:165] offset:29056                   // 0000000050C4: D89A7180 0000A403
	ds_write_b64 v3, v[166:167] offset:37760                   // 0000000050CC: D89A9380 0000A603
	ds_write_b64 v3, v[168:169] offset:31232                   // 0000000050D4: D89A7A00 0000A803
	ds_write_b64 v3, v[170:171] offset:39936                   // 0000000050DC: D89A9C00 0000AA03
	ds_write_b64 v3, v[172:173] offset:33408                   // 0000000050E4: D89A8280 0000AC03
	ds_write_b64 v3, v[174:175] offset:42112                   // 0000000050EC: D89AA480 0000AE03
	s_waitcnt lgkmcnt(0)                                       // 0000000050F4: BF8CC07F
	s_barrier                                                  // 0000000050F8: BF8A0000
	ds_read_b32 v64, v4 offset:26880                           // 0000000050FC: D86C6900 40000004
	ds_read_b32 v65, v4 offset:31232                           // 000000005104: D86C7A00 41000004
	ds_read_b32 v66, v4 offset:26912                           // 00000000510C: D86C6920 42000004
	ds_read_b32 v67, v4 offset:31264                           // 000000005114: D86C7A20 43000004
	ds_read_b32 v68, v4 offset:26944                           // 00000000511C: D86C6940 44000004
	ds_read_b32 v69, v4 offset:31296                           // 000000005124: D86C7A40 45000004
	ds_read_b32 v70, v4 offset:26976                           // 00000000512C: D86C6960 46000004
	ds_read_b32 v71, v4 offset:31328                           // 000000005134: D86C7A60 47000004
	ds_read_b32 v72, v4 offset:35584                           // 00000000513C: D86C8B00 48000004
	ds_read_b32 v73, v4 offset:39936                           // 000000005144: D86C9C00 49000004
	ds_read_b32 v74, v4 offset:35616                           // 00000000514C: D86C8B20 4A000004
	ds_read_b32 v75, v4 offset:39968                           // 000000005154: D86C9C20 4B000004
	ds_read_b32 v76, v4 offset:35648                           // 00000000515C: D86C8B40 4C000004
	ds_read_b32 v77, v4 offset:40000                           // 000000005164: D86C9C40 4D000004
	ds_read_b32 v78, v4 offset:35680                           // 00000000516C: D86C8B60 4E000004
	ds_read_b32 v79, v4 offset:40032                           // 000000005174: D86C9C60 4F000004
	s_waitcnt lgkmcnt(0)                                       // 00000000517C: BF8CC07F
	s_mov_b64 exec, s[20:21]                                   // 000000005180: BEFE0114
	global_atomic_pk_add_f16 v80, v64, s[8:9]                  // 000000005184: DD388000 00084050
	s_mov_b64 exec, s[36:37]                                   // 00000000518C: BEFE0124
	s_mov_b64 exec, s[20:21]                                   // 000000005190: BEFE0114
	global_atomic_pk_add_f16 v80, v65, s[8:9] offset:256       // 000000005194: DD388100 00084150
	s_mov_b64 exec, s[36:37]                                   // 00000000519C: BEFE0124
	s_mov_b64 exec, s[22:23]                                   // 0000000051A0: BEFE0116
	global_atomic_pk_add_f16 v82, v66, s[8:9]                  // 0000000051A4: DD388000 00084252
	s_mov_b64 exec, s[36:37]                                   // 0000000051AC: BEFE0124
	s_mov_b64 exec, s[22:23]                                   // 0000000051B0: BEFE0116
	global_atomic_pk_add_f16 v82, v67, s[8:9] offset:256       // 0000000051B4: DD388100 00084352
	s_mov_b64 exec, s[36:37]                                   // 0000000051BC: BEFE0124
	s_mov_b64 exec, s[24:25]                                   // 0000000051C0: BEFE0118
	global_atomic_pk_add_f16 v84, v68, s[8:9]                  // 0000000051C4: DD388000 00084454
	s_mov_b64 exec, s[36:37]                                   // 0000000051CC: BEFE0124
	s_mov_b64 exec, s[24:25]                                   // 0000000051D0: BEFE0118
	global_atomic_pk_add_f16 v84, v69, s[8:9] offset:256       // 0000000051D4: DD388100 00084554
	s_mov_b64 exec, s[36:37]                                   // 0000000051DC: BEFE0124
	s_mov_b64 exec, s[26:27]                                   // 0000000051E0: BEFE011A
	global_atomic_pk_add_f16 v86, v70, s[8:9]                  // 0000000051E4: DD388000 00084656
	s_mov_b64 exec, s[36:37]                                   // 0000000051EC: BEFE0124
	s_mov_b64 exec, s[26:27]                                   // 0000000051F0: BEFE011A
	global_atomic_pk_add_f16 v86, v71, s[8:9] offset:256       // 0000000051F4: DD388100 00084756
	s_mov_b64 exec, s[36:37]                                   // 0000000051FC: BEFE0124
	s_mov_b64 exec, s[28:29]                                   // 000000005200: BEFE011C
	global_atomic_pk_add_f16 v88, v72, s[8:9]                  // 000000005204: DD388000 00084858
	s_mov_b64 exec, s[36:37]                                   // 00000000520C: BEFE0124
	s_mov_b64 exec, s[28:29]                                   // 000000005210: BEFE011C
	global_atomic_pk_add_f16 v88, v73, s[8:9] offset:256       // 000000005214: DD388100 00084958
	s_mov_b64 exec, s[36:37]                                   // 00000000521C: BEFE0124
	s_mov_b64 exec, s[30:31]                                   // 000000005220: BEFE011E
	global_atomic_pk_add_f16 v90, v74, s[8:9]                  // 000000005224: DD388000 00084A5A
	s_mov_b64 exec, s[36:37]                                   // 00000000522C: BEFE0124
	s_mov_b64 exec, s[30:31]                                   // 000000005230: BEFE011E
	global_atomic_pk_add_f16 v90, v75, s[8:9] offset:256       // 000000005234: DD388100 00084B5A
	s_mov_b64 exec, s[36:37]                                   // 00000000523C: BEFE0124
	s_mov_b64 exec, s[32:33]                                   // 000000005240: BEFE0120
	global_atomic_pk_add_f16 v92, v76, s[8:9]                  // 000000005244: DD388000 00084C5C
	s_mov_b64 exec, s[36:37]                                   // 00000000524C: BEFE0124
	s_mov_b64 exec, s[32:33]                                   // 000000005250: BEFE0120
	global_atomic_pk_add_f16 v92, v77, s[8:9] offset:256       // 000000005254: DD388100 00084D5C
	s_mov_b64 exec, s[36:37]                                   // 00000000525C: BEFE0124
	s_mov_b64 exec, s[34:35]                                   // 000000005260: BEFE0122
	global_atomic_pk_add_f16 v94, v78, s[8:9]                  // 000000005264: DD388000 00084E5E
	s_mov_b64 exec, s[36:37]                                   // 00000000526C: BEFE0124
	s_mov_b64 exec, s[34:35]                                   // 000000005270: BEFE0122
	global_atomic_pk_add_f16 v94, v79, s[8:9] offset:256       // 000000005274: DD388100 00084F5E
	s_mov_b64 exec, s[36:37]                                   // 00000000527C: BEFE0124
	s_add_u32 s8, s59, s8                                      // 000000005280: 8008083B
	s_addc_u32 s9, 0, s9                                       // 000000005284: 82090980
	s_addk_i32 s80, 0x100                                      // 000000005288: B7500100
	s_cmp_lt_i32 s80, s81                                      // 00000000528C: BF045150
	s_cbranch_scc0 label_0B15                                  // 000000005290: BF8401F0
	s_waitcnt vmcnt(29)                                        // 000000005294: BF8C4F7D
	s_barrier                                                  // 000000005298: BF8A0000
	v_mfma_i32_16x16x32_i8 v[192:195], a[64:65], v[128:129], 0 // 00000000529C: D3D700C0 0A030140
	v_mfma_i32_16x16x32_i8 v[192:195], a[66:67], v[130:131], v[192:195]// 0000000052A4: D3D700C0 0F030542
	buffer_load_dwordx4 a[0:3], v36, s[12:15], 0 offen         // 0000000052AC: E05C1000 80830024
	v_mfma_i32_16x16x32_i8 v[196:199], a[64:65], v[144:145], 0 // 0000000052B4: D3D700C4 0A032140
	v_mfma_i32_16x16x32_i8 v[196:199], a[66:67], v[146:147], v[196:199]// 0000000052BC: D3D700C4 0F132542
	v_mfma_i32_16x16x32_i8 v[200:203], a[68:69], v[128:129], 0 // 0000000052C4: D3D700C8 0A030144
	v_mfma_i32_16x16x32_i8 v[200:203], a[70:71], v[130:131], v[200:203]// 0000000052CC: D3D700C8 0F230546
	buffer_load_dwordx4 a[4:7], v37, s[12:15], 0 offen         // 0000000052D4: E05C1000 80830425
	v_mfma_i32_16x16x32_i8 v[204:207], a[68:69], v[144:145], 0 // 0000000052DC: D3D700CC 0A032144
	v_mfma_i32_16x16x32_i8 v[204:207], a[70:71], v[146:147], v[204:207]// 0000000052E4: D3D700CC 0F332546
	v_mfma_i32_16x16x32_i8 v[208:211], a[72:73], v[128:129], 0 // 0000000052EC: D3D700D0 0A030148
	v_mfma_i32_16x16x32_i8 v[208:211], a[74:75], v[130:131], v[208:211]// 0000000052F4: D3D700D0 0F43054A
	buffer_load_dwordx4 a[8:11], v38, s[12:15], 0 offen        // 0000000052FC: E05C1000 80830826
	v_mfma_i32_16x16x32_i8 v[212:215], a[72:73], v[144:145], 0 // 000000005304: D3D700D4 0A032148
	v_mfma_i32_16x16x32_i8 v[212:215], a[74:75], v[146:147], v[212:215]// 00000000530C: D3D700D4 0F53254A
	v_mfma_i32_16x16x32_i8 v[216:219], a[76:77], v[128:129], 0 // 000000005314: D3D700D8 0A03014C
	v_mfma_i32_16x16x32_i8 v[216:219], a[78:79], v[130:131], v[216:219]// 00000000531C: D3D700D8 0F63054E
	buffer_load_dwordx4 a[12:15], v39, s[12:15], 0 offen       // 000000005324: E05C1000 80830C27
	s_add_u32 s12, s78, s12                                    // 00000000532C: 800C0C4E
	s_addc_u32 s13, 0, s13                                     // 000000005330: 820D0D80
	v_mfma_i32_16x16x32_i8 v[220:223], a[76:77], v[144:145], 0 // 000000005334: D3D700DC 0A03214C
	v_mfma_i32_16x16x32_i8 v[220:223], a[78:79], v[146:147], v[220:223]// 00000000533C: D3D700DC 0F73254E
	s_waitcnt vmcnt(29)                                        // 000000005344: BF8C4F7D
	v_mfma_i32_16x16x32_i8 v[192:195], a[80:81], v[132:133], v[192:195]// 000000005348: D3D700C0 0F030950
	v_mfma_i32_16x16x32_i8 v[192:195], a[82:83], v[134:135], v[192:195]// 000000005350: D3D700C0 0F030D52
	buffer_load_dwordx4 a[16:19], v36, s[12:15], 0 offen       // 000000005358: E05C1000 80831024
	v_mfma_i32_16x16x32_i8 v[196:199], a[80:81], v[148:149], v[196:199]// 000000005360: D3D700C4 0F132950
	v_mfma_i32_16x16x32_i8 v[196:199], a[82:83], v[150:151], v[196:199]// 000000005368: D3D700C4 0F132D52
	v_mfma_i32_16x16x32_i8 v[200:203], a[84:85], v[132:133], v[200:203]// 000000005370: D3D700C8 0F230954
	v_mfma_i32_16x16x32_i8 v[200:203], a[86:87], v[134:135], v[200:203]// 000000005378: D3D700C8 0F230D56
	buffer_load_dwordx4 a[20:23], v37, s[12:15], 0 offen       // 000000005380: E05C1000 80831425
	v_mfma_i32_16x16x32_i8 v[204:207], a[84:85], v[148:149], v[204:207]// 000000005388: D3D700CC 0F332954
	v_mfma_i32_16x16x32_i8 v[204:207], a[86:87], v[150:151], v[204:207]// 000000005390: D3D700CC 0F332D56
	v_mfma_i32_16x16x32_i8 v[208:211], a[88:89], v[132:133], v[208:211]// 000000005398: D3D700D0 0F430958
	v_mfma_i32_16x16x32_i8 v[208:211], a[90:91], v[134:135], v[208:211]// 0000000053A0: D3D700D0 0F430D5A
	buffer_load_dwordx4 a[24:27], v38, s[12:15], 0 offen       // 0000000053A8: E05C1000 80831826
	v_mfma_i32_16x16x32_i8 v[212:215], a[88:89], v[148:149], v[212:215]// 0000000053B0: D3D700D4 0F532958
	v_mfma_i32_16x16x32_i8 v[212:215], a[90:91], v[150:151], v[212:215]// 0000000053B8: D3D700D4 0F532D5A
	v_mfma_i32_16x16x32_i8 v[216:219], a[92:93], v[132:133], v[216:219]// 0000000053C0: D3D700D8 0F63095C
	v_mfma_i32_16x16x32_i8 v[216:219], a[94:95], v[134:135], v[216:219]// 0000000053C8: D3D700D8 0F630D5E
	buffer_load_dwordx4 a[28:31], v39, s[12:15], 0 offen       // 0000000053D0: E05C1000 80831C27
	s_add_u32 s12, s78, s12                                    // 0000000053D8: 800C0C4E
	s_addc_u32 s13, 0, s13                                     // 0000000053DC: 820D0D80
	v_mfma_i32_16x16x32_i8 v[220:223], a[92:93], v[148:149], v[220:223]// 0000000053E0: D3D700DC 0F73295C
	v_mfma_i32_16x16x32_i8 v[220:223], a[94:95], v[150:151], v[220:223]// 0000000053E8: D3D700DC 0F732D5E
	s_waitcnt vmcnt(29)                                        // 0000000053F0: BF8C4F7D
	v_mfma_i32_16x16x32_i8 v[192:195], a[96:97], v[136:137], v[192:195]// 0000000053F4: D3D700C0 0F031160
	v_mfma_i32_16x16x32_i8 v[192:195], a[98:99], v[138:139], v[192:195]// 0000000053FC: D3D700C0 0F031562
	buffer_load_dwordx4 a[32:35], v36, s[12:15], 0 offen       // 000000005404: E05C1000 80832024
	v_mfma_i32_16x16x32_i8 v[196:199], a[96:97], v[152:153], v[196:199]// 00000000540C: D3D700C4 0F133160
	v_mfma_i32_16x16x32_i8 v[196:199], a[98:99], v[154:155], v[196:199]// 000000005414: D3D700C4 0F133562
	v_mfma_i32_16x16x32_i8 v[200:203], a[100:101], v[136:137], v[200:203]// 00000000541C: D3D700C8 0F231164
	v_mfma_i32_16x16x32_i8 v[200:203], a[102:103], v[138:139], v[200:203]// 000000005424: D3D700C8 0F231566
	buffer_load_dwordx4 a[36:39], v37, s[12:15], 0 offen       // 00000000542C: E05C1000 80832425
	v_mfma_i32_16x16x32_i8 v[204:207], a[100:101], v[152:153], v[204:207]// 000000005434: D3D700CC 0F333164
	v_mfma_i32_16x16x32_i8 v[204:207], a[102:103], v[154:155], v[204:207]// 00000000543C: D3D700CC 0F333566
	v_mfma_i32_16x16x32_i8 v[208:211], a[104:105], v[136:137], v[208:211]// 000000005444: D3D700D0 0F431168
	v_mfma_i32_16x16x32_i8 v[208:211], a[106:107], v[138:139], v[208:211]// 00000000544C: D3D700D0 0F43156A
	buffer_load_dwordx4 a[40:43], v38, s[12:15], 0 offen       // 000000005454: E05C1000 80832826
	v_mfma_i32_16x16x32_i8 v[212:215], a[104:105], v[152:153], v[212:215]// 00000000545C: D3D700D4 0F533168
	v_mfma_i32_16x16x32_i8 v[212:215], a[106:107], v[154:155], v[212:215]// 000000005464: D3D700D4 0F53356A
	v_mfma_i32_16x16x32_i8 v[216:219], a[108:109], v[136:137], v[216:219]// 00000000546C: D3D700D8 0F63116C
	v_mfma_i32_16x16x32_i8 v[216:219], a[110:111], v[138:139], v[216:219]// 000000005474: D3D700D8 0F63156E
	buffer_load_dwordx4 a[44:47], v39, s[12:15], 0 offen       // 00000000547C: E05C1000 80832C27
	s_add_u32 s12, s78, s12                                    // 000000005484: 800C0C4E
	s_addc_u32 s13, 0, s13                                     // 000000005488: 820D0D80
	v_mfma_i32_16x16x32_i8 v[220:223], a[108:109], v[152:153], v[220:223]// 00000000548C: D3D700DC 0F73316C
	v_mfma_i32_16x16x32_i8 v[220:223], a[110:111], v[154:155], v[220:223]// 000000005494: D3D700DC 0F73356E
	s_waitcnt vmcnt(28)                                        // 00000000549C: BF8C4F7C
	v_mfma_i32_16x16x32_i8 v[192:195], a[112:113], v[140:141], v[192:195]// 0000000054A0: D3D700C0 0F031970
	v_mfma_i32_16x16x32_i8 v[192:195], a[114:115], v[142:143], v[192:195]// 0000000054A8: D3D700C0 0F031D72
	buffer_load_dwordx4 a[48:51], v36, s[12:15], 0 offen       // 0000000054B0: E05C1000 80833024
	v_mfma_i32_16x16x32_i8 v[196:199], a[112:113], v[156:157], v[196:199]// 0000000054B8: D3D700C4 0F133970
	v_mfma_i32_16x16x32_i8 v[196:199], a[114:115], v[158:159], v[196:199]// 0000000054C0: D3D700C4 0F133D72
	buffer_load_dword v11, v5, s[16:19], 0 offen               // 0000000054C8: E0501000 80040B05
	v_mfma_i32_16x16x32_i8 v[200:203], a[116:117], v[140:141], v[200:203]// 0000000054D0: D3D700C8 0F231974
	v_mfma_i32_16x16x32_i8 v[200:203], a[118:119], v[142:143], v[200:203]// 0000000054D8: D3D700C8 0F231D76
	buffer_load_dwordx4 a[52:55], v37, s[12:15], 0 offen       // 0000000054E0: E05C1000 80833425
	v_mfma_i32_16x16x32_i8 v[204:207], a[116:117], v[156:157], v[204:207]// 0000000054E8: D3D700CC 0F333974
	v_mfma_i32_16x16x32_i8 v[204:207], a[118:119], v[158:159], v[204:207]// 0000000054F0: D3D700CC 0F333D76
	v_mfma_i32_16x16x32_i8 v[208:211], a[120:121], v[140:141], v[208:211]// 0000000054F8: D3D700D0 0F431978
	v_mfma_i32_16x16x32_i8 v[208:211], a[122:123], v[142:143], v[208:211]// 000000005500: D3D700D0 0F431D7A
	buffer_load_dwordx4 a[56:59], v38, s[12:15], 0 offen       // 000000005508: E05C1000 80833826
	v_mfma_i32_16x16x32_i8 v[212:215], a[120:121], v[156:157], v[212:215]// 000000005510: D3D700D4 0F533978
	v_mfma_i32_16x16x32_i8 v[212:215], a[122:123], v[158:159], v[212:215]// 000000005518: D3D700D4 0F533D7A
	v_mfma_i32_16x16x32_i8 v[216:219], a[124:125], v[140:141], v[216:219]// 000000005520: D3D700D8 0F63197C
	v_mfma_i32_16x16x32_i8 v[216:219], a[126:127], v[142:143], v[216:219]// 000000005528: D3D700D8 0F631D7E
	buffer_load_dwordx4 a[60:63], v39, s[12:15], 0 offen       // 000000005530: E05C1000 80833C27
	v_mfma_i32_16x16x32_i8 v[220:223], a[124:125], v[156:157], v[220:223]// 000000005538: D3D700DC 0F73397C
	v_mfma_i32_16x16x32_i8 v[220:223], a[126:127], v[158:159], v[220:223]// 000000005540: D3D700DC 0F733D7E
	s_add_u32 s60, 0x200, s80                                  // 000000005548: 803C50FF 00000200
	s_cmp_lt_u32 s60, s81                                      // 000000005550: BF0A513C
	s_cselect_b32 s56, s56, 0                                  // 000000005554: 85388038
	s_cselect_b32 s78, s78, 0                                  // 000000005558: 854E804E
	s_cselect_b32 s79, s79, 0                                  // 00000000555C: 854F804F
	s_add_u32 s12, s56, s12                                    // 000000005560: 800C0C38
	s_addc_u32 s13, 0, s13                                     // 000000005564: 820D0D80
	s_add_u32 s16, s79, s16                                    // 000000005568: 8010104F
	s_addc_u32 s17, 0, s17                                     // 00000000556C: 82111180
	v_cvt_f32_i32_e32 v192, v192                               // 000000005570: 7F800BC0
	v_cvt_f32_i32_e32 v193, v193                               // 000000005574: 7F820BC1
	v_cvt_f32_i32_e32 v194, v194                               // 000000005578: 7F840BC2
	v_cvt_f32_i32_e32 v195, v195                               // 00000000557C: 7F860BC3
	v_mul_f32_e32 v192, v22, v192                              // 000000005580: 0B818116
	v_mul_f32_e32 v193, v22, v193                              // 000000005584: 0B838316
	v_mul_f32_e32 v194, v22, v194                              // 000000005588: 0B858516
	v_mul_f32_e32 v195, v22, v195                              // 00000000558C: 0B878716
	v_mul_f32_dpp v192, v12, v192 row_newbcast:0 row_mask:0xf bank_mask:0xf// 000000005590: 0B8180FA FF01500C
	v_mul_f32_dpp v193, v12, v193 row_newbcast:1 row_mask:0xf bank_mask:0xf// 000000005598: 0B8382FA FF01510C
	v_mul_f32_dpp v194, v12, v194 row_newbcast:2 row_mask:0xf bank_mask:0xf// 0000000055A0: 0B8584FA FF01520C
	v_mul_f32_dpp v195, v12, v195 row_newbcast:3 row_mask:0xf bank_mask:0xf// 0000000055A8: 0B8786FA FF01530C
	v_mul_f32_e32 v192, v17, v192                              // 0000000055B0: 0B818111
	v_mul_f32_e32 v193, v17, v193                              // 0000000055B4: 0B838311
	v_mul_f32_e32 v194, v17, v194                              // 0000000055B8: 0B858511
	v_mul_f32_e32 v195, v17, v195                              // 0000000055BC: 0B878711
	v_cvt_f32_i32_e32 v196, v196                               // 0000000055C0: 7F880BC4
	v_cvt_f32_i32_e32 v197, v197                               // 0000000055C4: 7F8A0BC5
	v_cvt_f32_i32_e32 v198, v198                               // 0000000055C8: 7F8C0BC6
	v_cvt_f32_i32_e32 v199, v199                               // 0000000055CC: 7F8E0BC7
	v_mul_f32_e32 v196, v23, v196                              // 0000000055D0: 0B898917
	v_mul_f32_e32 v197, v23, v197                              // 0000000055D4: 0B8B8B17
	v_mul_f32_e32 v198, v23, v198                              // 0000000055D8: 0B8D8D17
	v_mul_f32_e32 v199, v23, v199                              // 0000000055DC: 0B8F8F17
	v_mul_f32_dpp v196, v12, v196 row_newbcast:0 row_mask:0xf bank_mask:0xf// 0000000055E0: 0B8988FA FF01500C
	v_mul_f32_dpp v197, v12, v197 row_newbcast:1 row_mask:0xf bank_mask:0xf// 0000000055E8: 0B8B8AFA FF01510C
	v_mul_f32_dpp v198, v12, v198 row_newbcast:2 row_mask:0xf bank_mask:0xf// 0000000055F0: 0B8D8CFA FF01520C
	v_mul_f32_dpp v199, v12, v199 row_newbcast:3 row_mask:0xf bank_mask:0xf// 0000000055F8: 0B8F8EFA FF01530C
	v_mul_f32_e32 v196, v18, v196                              // 000000005600: 0B898912
	v_mul_f32_e32 v197, v18, v197                              // 000000005604: 0B8B8B12
	v_mul_f32_e32 v198, v18, v198                              // 000000005608: 0B8D8D12
	v_mul_f32_e32 v199, v18, v199                              // 00000000560C: 0B8F8F12
	v_cvt_f32_i32_e32 v200, v200                               // 000000005610: 7F900BC8
	v_cvt_f32_i32_e32 v201, v201                               // 000000005614: 7F920BC9
	v_cvt_f32_i32_e32 v202, v202                               // 000000005618: 7F940BCA
	v_cvt_f32_i32_e32 v203, v203                               // 00000000561C: 7F960BCB
	v_mul_f32_e32 v200, v22, v200                              // 000000005620: 0B919116
	v_mul_f32_e32 v201, v22, v201                              // 000000005624: 0B939316
	v_mul_f32_e32 v202, v22, v202                              // 000000005628: 0B959516
	v_mul_f32_e32 v203, v22, v203                              // 00000000562C: 0B979716
	v_mul_f32_dpp v200, v12, v200 row_newbcast:4 row_mask:0xf bank_mask:0xf// 000000005630: 0B9190FA FF01540C
	v_mul_f32_dpp v201, v12, v201 row_newbcast:5 row_mask:0xf bank_mask:0xf// 000000005638: 0B9392FA FF01550C
	v_mul_f32_dpp v202, v12, v202 row_newbcast:6 row_mask:0xf bank_mask:0xf// 000000005640: 0B9594FA FF01560C
	v_mul_f32_dpp v203, v12, v203 row_newbcast:7 row_mask:0xf bank_mask:0xf// 000000005648: 0B9796FA FF01570C
	v_mul_f32_e32 v200, v17, v200                              // 000000005650: 0B919111
	v_mul_f32_e32 v201, v17, v201                              // 000000005654: 0B939311
	v_mul_f32_e32 v202, v17, v202                              // 000000005658: 0B959511
	v_mul_f32_e32 v203, v17, v203                              // 00000000565C: 0B979711
	v_cvt_f32_i32_e32 v204, v204                               // 000000005660: 7F980BCC
	v_cvt_f32_i32_e32 v205, v205                               // 000000005664: 7F9A0BCD
	v_cvt_f32_i32_e32 v206, v206                               // 000000005668: 7F9C0BCE
	v_cvt_f32_i32_e32 v207, v207                               // 00000000566C: 7F9E0BCF
	v_mul_f32_e32 v204, v23, v204                              // 000000005670: 0B999917
	v_mul_f32_e32 v205, v23, v205                              // 000000005674: 0B9B9B17
	v_mul_f32_e32 v206, v23, v206                              // 000000005678: 0B9D9D17
	v_mul_f32_e32 v207, v23, v207                              // 00000000567C: 0B9F9F17
	v_mul_f32_dpp v204, v12, v204 row_newbcast:4 row_mask:0xf bank_mask:0xf// 000000005680: 0B9998FA FF01540C
	v_mul_f32_dpp v205, v12, v205 row_newbcast:5 row_mask:0xf bank_mask:0xf// 000000005688: 0B9B9AFA FF01550C
	v_mul_f32_dpp v206, v12, v206 row_newbcast:6 row_mask:0xf bank_mask:0xf// 000000005690: 0B9D9CFA FF01560C
	v_mul_f32_dpp v207, v12, v207 row_newbcast:7 row_mask:0xf bank_mask:0xf// 000000005698: 0B9F9EFA FF01570C
	v_mul_f32_e32 v204, v18, v204                              // 0000000056A0: 0B999912
	v_mul_f32_e32 v205, v18, v205                              // 0000000056A4: 0B9B9B12
	v_mul_f32_e32 v206, v18, v206                              // 0000000056A8: 0B9D9D12
	v_mul_f32_e32 v207, v18, v207                              // 0000000056AC: 0B9F9F12
	v_cvt_f32_i32_e32 v208, v208                               // 0000000056B0: 7FA00BD0
	v_cvt_f32_i32_e32 v209, v209                               // 0000000056B4: 7FA20BD1
	v_cvt_f32_i32_e32 v210, v210                               // 0000000056B8: 7FA40BD2
	v_cvt_f32_i32_e32 v211, v211                               // 0000000056BC: 7FA60BD3
	v_mul_f32_e32 v208, v22, v208                              // 0000000056C0: 0BA1A116
	v_mul_f32_e32 v209, v22, v209                              // 0000000056C4: 0BA3A316
	v_mul_f32_e32 v210, v22, v210                              // 0000000056C8: 0BA5A516
	v_mul_f32_e32 v211, v22, v211                              // 0000000056CC: 0BA7A716
	v_mul_f32_dpp v208, v12, v208 row_newbcast:8 row_mask:0xf bank_mask:0xf// 0000000056D0: 0BA1A0FA FF01580C
	v_mul_f32_dpp v209, v12, v209 row_newbcast:9 row_mask:0xf bank_mask:0xf// 0000000056D8: 0BA3A2FA FF01590C
	v_mul_f32_dpp v210, v12, v210 row_newbcast:10 row_mask:0xf bank_mask:0xf// 0000000056E0: 0BA5A4FA FF015A0C
	v_mul_f32_dpp v211, v12, v211 row_newbcast:11 row_mask:0xf bank_mask:0xf// 0000000056E8: 0BA7A6FA FF015B0C
	v_mul_f32_e32 v208, v17, v208                              // 0000000056F0: 0BA1A111
	v_mul_f32_e32 v209, v17, v209                              // 0000000056F4: 0BA3A311
	v_mul_f32_e32 v210, v17, v210                              // 0000000056F8: 0BA5A511
	v_mul_f32_e32 v211, v17, v211                              // 0000000056FC: 0BA7A711
	v_cvt_f32_i32_e32 v212, v212                               // 000000005700: 7FA80BD4
	v_cvt_f32_i32_e32 v213, v213                               // 000000005704: 7FAA0BD5
	v_cvt_f32_i32_e32 v214, v214                               // 000000005708: 7FAC0BD6
	v_cvt_f32_i32_e32 v215, v215                               // 00000000570C: 7FAE0BD7
	v_mul_f32_e32 v212, v23, v212                              // 000000005710: 0BA9A917
	v_mul_f32_e32 v213, v23, v213                              // 000000005714: 0BABAB17
	v_mul_f32_e32 v214, v23, v214                              // 000000005718: 0BADAD17
	v_mul_f32_e32 v215, v23, v215                              // 00000000571C: 0BAFAF17
	v_mul_f32_dpp v212, v12, v212 row_newbcast:8 row_mask:0xf bank_mask:0xf// 000000005720: 0BA9A8FA FF01580C
	v_mul_f32_dpp v213, v12, v213 row_newbcast:9 row_mask:0xf bank_mask:0xf// 000000005728: 0BABAAFA FF01590C
	v_mul_f32_dpp v214, v12, v214 row_newbcast:10 row_mask:0xf bank_mask:0xf// 000000005730: 0BADACFA FF015A0C
	v_mul_f32_dpp v215, v12, v215 row_newbcast:11 row_mask:0xf bank_mask:0xf// 000000005738: 0BAFAEFA FF015B0C
	v_mul_f32_e32 v212, v18, v212                              // 000000005740: 0BA9A912
	v_mul_f32_e32 v213, v18, v213                              // 000000005744: 0BABAB12
	v_mul_f32_e32 v214, v18, v214                              // 000000005748: 0BADAD12
	v_mul_f32_e32 v215, v18, v215                              // 00000000574C: 0BAFAF12
	v_cvt_f32_i32_e32 v216, v216                               // 000000005750: 7FB00BD8
	v_cvt_f32_i32_e32 v217, v217                               // 000000005754: 7FB20BD9
	v_cvt_f32_i32_e32 v218, v218                               // 000000005758: 7FB40BDA
	v_cvt_f32_i32_e32 v219, v219                               // 00000000575C: 7FB60BDB
	v_mul_f32_e32 v216, v22, v216                              // 000000005760: 0BB1B116
	v_mul_f32_e32 v217, v22, v217                              // 000000005764: 0BB3B316
	v_mul_f32_e32 v218, v22, v218                              // 000000005768: 0BB5B516
	v_mul_f32_e32 v219, v22, v219                              // 00000000576C: 0BB7B716
	v_mul_f32_dpp v216, v12, v216 row_newbcast:12 row_mask:0xf bank_mask:0xf// 000000005770: 0BB1B0FA FF015C0C
	v_mul_f32_dpp v217, v12, v217 row_newbcast:13 row_mask:0xf bank_mask:0xf// 000000005778: 0BB3B2FA FF015D0C
	v_mul_f32_dpp v218, v12, v218 row_newbcast:14 row_mask:0xf bank_mask:0xf// 000000005780: 0BB5B4FA FF015E0C
	v_mul_f32_dpp v219, v12, v219 row_newbcast:15 row_mask:0xf bank_mask:0xf// 000000005788: 0BB7B6FA FF015F0C
	v_mul_f32_e32 v216, v17, v216                              // 000000005790: 0BB1B111
	v_mul_f32_e32 v217, v17, v217                              // 000000005794: 0BB3B311
	v_mul_f32_e32 v218, v17, v218                              // 000000005798: 0BB5B511
	v_mul_f32_e32 v219, v17, v219                              // 00000000579C: 0BB7B711
	v_cvt_f32_i32_e32 v220, v220                               // 0000000057A0: 7FB80BDC
	v_cvt_f32_i32_e32 v221, v221                               // 0000000057A4: 7FBA0BDD
	v_cvt_f32_i32_e32 v222, v222                               // 0000000057A8: 7FBC0BDE
	v_cvt_f32_i32_e32 v223, v223                               // 0000000057AC: 7FBE0BDF
	v_mul_f32_e32 v220, v23, v220                              // 0000000057B0: 0BB9B917
	v_mul_f32_e32 v221, v23, v221                              // 0000000057B4: 0BBBBB17
	v_mul_f32_e32 v222, v23, v222                              // 0000000057B8: 0BBDBD17
	v_mul_f32_e32 v223, v23, v223                              // 0000000057BC: 0BBFBF17
	v_mul_f32_dpp v220, v12, v220 row_newbcast:12 row_mask:0xf bank_mask:0xf// 0000000057C0: 0BB9B8FA FF015C0C
	v_mul_f32_dpp v221, v12, v221 row_newbcast:13 row_mask:0xf bank_mask:0xf// 0000000057C8: 0BBBBAFA FF015D0C
	v_mul_f32_dpp v222, v12, v222 row_newbcast:14 row_mask:0xf bank_mask:0xf// 0000000057D0: 0BBDBCFA FF015E0C
	v_mul_f32_dpp v223, v12, v223 row_newbcast:15 row_mask:0xf bank_mask:0xf// 0000000057D8: 0BBFBEFA FF015F0C
	v_mul_f32_e32 v220, v18, v220                              // 0000000057E0: 0BB9B912
	v_mul_f32_e32 v221, v18, v221                              // 0000000057E4: 0BBBBB12
	v_mul_f32_e32 v222, v18, v222                              // 0000000057E8: 0BBDBD12
	v_mul_f32_e32 v223, v18, v223                              // 0000000057EC: 0BBFBF12
	v_cvt_pkrtz_f16_f32 v192, v192, v193                       // 0000000057F0: D29600C0 000383C0
	v_cvt_pkrtz_f16_f32 v193, v194, v195                       // 0000000057F8: D29600C1 000387C2
	v_cvt_pkrtz_f16_f32 v194, v196, v197                       // 000000005800: D29600C2 00038BC4
	v_cvt_pkrtz_f16_f32 v195, v198, v199                       // 000000005808: D29600C3 00038FC6
	v_cvt_pkrtz_f16_f32 v196, v200, v201                       // 000000005810: D29600C4 000393C8
	v_cvt_pkrtz_f16_f32 v197, v202, v203                       // 000000005818: D29600C5 000397CA
	v_cvt_pkrtz_f16_f32 v198, v204, v205                       // 000000005820: D29600C6 00039BCC
	v_cvt_pkrtz_f16_f32 v199, v206, v207                       // 000000005828: D29600C7 00039FCE
	v_cvt_pkrtz_f16_f32 v200, v208, v209                       // 000000005830: D29600C8 0003A3D0
	v_cvt_pkrtz_f16_f32 v201, v210, v211                       // 000000005838: D29600C9 0003A7D2
	v_cvt_pkrtz_f16_f32 v202, v212, v213                       // 000000005840: D29600CA 0003ABD4
	v_cvt_pkrtz_f16_f32 v203, v214, v215                       // 000000005848: D29600CB 0003AFD6
	v_cvt_pkrtz_f16_f32 v204, v216, v217                       // 000000005850: D29600CC 0003B3D8
	v_cvt_pkrtz_f16_f32 v205, v218, v219                       // 000000005858: D29600CD 0003B7DA
	v_cvt_pkrtz_f16_f32 v206, v220, v221                       // 000000005860: D29600CE 0003BBDC
	v_cvt_pkrtz_f16_f32 v207, v222, v223                       // 000000005868: D29600CF 0003BFDE
	ds_write_b64 v3, v[192:193] offset:26880                   // 000000005870: D89A6900 0000C003
	ds_write_b64 v3, v[194:195] offset:35584                   // 000000005878: D89A8B00 0000C203
	ds_write_b64 v3, v[196:197] offset:29056                   // 000000005880: D89A7180 0000C403
	ds_write_b64 v3, v[198:199] offset:37760                   // 000000005888: D89A9380 0000C603
	ds_write_b64 v3, v[200:201] offset:31232                   // 000000005890: D89A7A00 0000C803
	ds_write_b64 v3, v[202:203] offset:39936                   // 000000005898: D89A9C00 0000CA03
	ds_write_b64 v3, v[204:205] offset:33408                   // 0000000058A0: D89A8280 0000CC03
	ds_write_b64 v3, v[206:207] offset:42112                   // 0000000058A8: D89AA480 0000CE03
	s_waitcnt lgkmcnt(0)                                       // 0000000058B0: BF8CC07F
	s_barrier                                                  // 0000000058B4: BF8A0000
	ds_read_b32 v64, v4 offset:26880                           // 0000000058B8: D86C6900 40000004
	ds_read_b32 v65, v4 offset:31232                           // 0000000058C0: D86C7A00 41000004
	ds_read_b32 v66, v4 offset:26912                           // 0000000058C8: D86C6920 42000004
	ds_read_b32 v67, v4 offset:31264                           // 0000000058D0: D86C7A20 43000004
	ds_read_b32 v68, v4 offset:26944                           // 0000000058D8: D86C6940 44000004
	ds_read_b32 v69, v4 offset:31296                           // 0000000058E0: D86C7A40 45000004
	ds_read_b32 v70, v4 offset:26976                           // 0000000058E8: D86C6960 46000004
	ds_read_b32 v71, v4 offset:31328                           // 0000000058F0: D86C7A60 47000004
	ds_read_b32 v72, v4 offset:35584                           // 0000000058F8: D86C8B00 48000004
	ds_read_b32 v73, v4 offset:39936                           // 000000005900: D86C9C00 49000004
	ds_read_b32 v74, v4 offset:35616                           // 000000005908: D86C8B20 4A000004
	ds_read_b32 v75, v4 offset:39968                           // 000000005910: D86C9C20 4B000004
	ds_read_b32 v76, v4 offset:35648                           // 000000005918: D86C8B40 4C000004
	ds_read_b32 v77, v4 offset:40000                           // 000000005920: D86C9C40 4D000004
	ds_read_b32 v78, v4 offset:35680                           // 000000005928: D86C8B60 4E000004
	ds_read_b32 v79, v4 offset:40032                           // 000000005930: D86C9C60 4F000004
	s_waitcnt lgkmcnt(0)                                       // 000000005938: BF8CC07F
	s_mov_b64 exec, s[20:21]                                   // 00000000593C: BEFE0114
	global_atomic_pk_add_f16 v80, v64, s[8:9]                  // 000000005940: DD388000 00084050
	s_mov_b64 exec, s[36:37]                                   // 000000005948: BEFE0124
	s_mov_b64 exec, s[20:21]                                   // 00000000594C: BEFE0114
	global_atomic_pk_add_f16 v80, v65, s[8:9] offset:256       // 000000005950: DD388100 00084150
	s_mov_b64 exec, s[36:37]                                   // 000000005958: BEFE0124
	s_mov_b64 exec, s[22:23]                                   // 00000000595C: BEFE0116
	global_atomic_pk_add_f16 v82, v66, s[8:9]                  // 000000005960: DD388000 00084252
	s_mov_b64 exec, s[36:37]                                   // 000000005968: BEFE0124
	s_mov_b64 exec, s[22:23]                                   // 00000000596C: BEFE0116
	global_atomic_pk_add_f16 v82, v67, s[8:9] offset:256       // 000000005970: DD388100 00084352
	s_mov_b64 exec, s[36:37]                                   // 000000005978: BEFE0124
	s_mov_b64 exec, s[24:25]                                   // 00000000597C: BEFE0118
	global_atomic_pk_add_f16 v84, v68, s[8:9]                  // 000000005980: DD388000 00084454
	s_mov_b64 exec, s[36:37]                                   // 000000005988: BEFE0124
	s_mov_b64 exec, s[24:25]                                   // 00000000598C: BEFE0118
	global_atomic_pk_add_f16 v84, v69, s[8:9] offset:256       // 000000005990: DD388100 00084554
	s_mov_b64 exec, s[36:37]                                   // 000000005998: BEFE0124
	s_mov_b64 exec, s[26:27]                                   // 00000000599C: BEFE011A
	global_atomic_pk_add_f16 v86, v70, s[8:9]                  // 0000000059A0: DD388000 00084656
	s_mov_b64 exec, s[36:37]                                   // 0000000059A8: BEFE0124
	s_mov_b64 exec, s[26:27]                                   // 0000000059AC: BEFE011A
	global_atomic_pk_add_f16 v86, v71, s[8:9] offset:256       // 0000000059B0: DD388100 00084756
	s_mov_b64 exec, s[36:37]                                   // 0000000059B8: BEFE0124
	s_mov_b64 exec, s[28:29]                                   // 0000000059BC: BEFE011C
	global_atomic_pk_add_f16 v88, v72, s[8:9]                  // 0000000059C0: DD388000 00084858
	s_mov_b64 exec, s[36:37]                                   // 0000000059C8: BEFE0124
	s_mov_b64 exec, s[28:29]                                   // 0000000059CC: BEFE011C
	global_atomic_pk_add_f16 v88, v73, s[8:9] offset:256       // 0000000059D0: DD388100 00084958
	s_mov_b64 exec, s[36:37]                                   // 0000000059D8: BEFE0124
	s_mov_b64 exec, s[30:31]                                   // 0000000059DC: BEFE011E
	global_atomic_pk_add_f16 v90, v74, s[8:9]                  // 0000000059E0: DD388000 00084A5A
	s_mov_b64 exec, s[36:37]                                   // 0000000059E8: BEFE0124
	s_mov_b64 exec, s[30:31]                                   // 0000000059EC: BEFE011E
	global_atomic_pk_add_f16 v90, v75, s[8:9] offset:256       // 0000000059F0: DD388100 00084B5A
	s_mov_b64 exec, s[36:37]                                   // 0000000059F8: BEFE0124
	s_mov_b64 exec, s[32:33]                                   // 0000000059FC: BEFE0120
	global_atomic_pk_add_f16 v92, v76, s[8:9]                  // 000000005A00: DD388000 00084C5C
	s_mov_b64 exec, s[36:37]                                   // 000000005A08: BEFE0124
	s_mov_b64 exec, s[32:33]                                   // 000000005A0C: BEFE0120
	global_atomic_pk_add_f16 v92, v77, s[8:9] offset:256       // 000000005A10: DD388100 00084D5C
	s_mov_b64 exec, s[36:37]                                   // 000000005A18: BEFE0124
	s_mov_b64 exec, s[34:35]                                   // 000000005A1C: BEFE0122
	global_atomic_pk_add_f16 v94, v78, s[8:9]                  // 000000005A20: DD388000 00084E5E
	s_mov_b64 exec, s[36:37]                                   // 000000005A28: BEFE0124
	s_mov_b64 exec, s[34:35]                                   // 000000005A2C: BEFE0122
	global_atomic_pk_add_f16 v94, v79, s[8:9] offset:256       // 000000005A30: DD388100 00084F5E
	s_mov_b64 exec, s[36:37]                                   // 000000005A38: BEFE0124
	s_add_u32 s8, s59, s8                                      // 000000005A3C: 8008083B
	s_addc_u32 s9, 0, s9                                       // 000000005A40: 82090980
	s_addk_i32 s80, 0x100                                      // 000000005A44: B7500100
	s_cmp_lt_i32 s80, s81                                      // 000000005A48: BF045150
	s_cbranch_scc0 label_0B15                                  // 000000005A4C: BF840001
	s_branch label_0736                                        // 000000005A50: BF82FC21

0000000000005a54 <label_0B15>:
	s_nop 0                                                    // 000000005A54: BF800000
	s_nop 0                                                    // 000000005A58: BF800000
	s_branch label_13CD                                        // 000000005A5C: BF8208B5

0000000000005a60 <label_0B18>:
	s_waitcnt vmcnt(8) lgkmcnt(0)                              // 000000005A60: BF8C0078
	s_barrier                                                  // 000000005A64: BF8A0000
	v_mfma_i32_16x16x32_i8 v[128:131], a[0:1], v[160:161], v[128:131]// 000000005A68: D3D70080 0E034100
	buffer_load_dwordx4 a[64:67], v32, s[24:27], 0 offen       // 000000005A70: E05C1000 80864020
	v_mfma_i32_16x16x32_i8 v[128:131], a[2:3], v[162:163], v[128:131]// 000000005A78: D3D70080 0E034502
	v_mfma_i32_16x16x32_i8 v[128:131], a[4:5], v[164:165], v[128:131]// 000000005A80: D3D70080 0E034904
	buffer_load_dword v24, s[20:23], 0 offen lds               // 000000005A88: E0511000 80050018
	s_add_u32 m0, 0x100, s50                                   // 000000005A90: 807C32FF 00000100
	v_mfma_i32_16x16x32_i8 v[128:131], a[6:7], v[166:167], v[128:131]// 000000005A98: D3D70080 0E034D06
	v_mfma_i32_16x16x32_i8 v[128:131], a[8:9], v[168:169], v[128:131]// 000000005AA0: D3D70080 0E035108
	buffer_load_dwordx4 a[68:71], v32, s[24:27], 0 offen offset:1024// 000000005AA8: E05C1400 80864420
	v_mfma_i32_16x16x32_i8 v[128:131], a[10:11], v[170:171], v[128:131]// 000000005AB0: D3D70080 0E03550A
	v_mfma_i32_16x16x32_i8 v[128:131], a[12:13], v[172:173], v[128:131]// 000000005AB8: D3D70080 0E03590C
	buffer_load_dword v25, s[20:23], 0 offen lds               // 000000005AC0: E0511000 80050019
	s_add_u32 m0, 0x200, s50                                   // 000000005AC8: 807C32FF 00000200
	v_mfma_i32_16x16x32_i8 v[128:131], a[14:15], v[174:175], v[128:131]// 000000005AD0: D3D70080 0E035D0E
	v_mfma_i32_16x16x32_i8 v[132:135], a[0:1], v[176:177], v[132:135]// 000000005AD8: D3D70084 0E136100
	buffer_load_dwordx4 a[72:75], v32, s[24:27], 0 offen offset:2048// 000000005AE0: E05C1800 80864820
	v_mfma_i32_16x16x32_i8 v[132:135], a[2:3], v[178:179], v[132:135]// 000000005AE8: D3D70084 0E136502
	v_mfma_i32_16x16x32_i8 v[132:135], a[4:5], v[180:181], v[132:135]// 000000005AF0: D3D70084 0E136904
	buffer_load_dword v26, s[20:23], 0 offen lds               // 000000005AF8: E0511000 8005001A
	s_add_u32 m0, 0x300, s50                                   // 000000005B00: 807C32FF 00000300
	v_mfma_i32_16x16x32_i8 v[132:135], a[6:7], v[182:183], v[132:135]// 000000005B08: D3D70084 0E136D06
	v_mfma_i32_16x16x32_i8 v[132:135], a[8:9], v[184:185], v[132:135]// 000000005B10: D3D70084 0E137108
	buffer_load_dwordx4 a[76:79], v32, s[24:27], 0 offen offset:3072// 000000005B18: E05C1C00 80864C20
	v_mfma_i32_16x16x32_i8 v[132:135], a[10:11], v[186:187], v[132:135]// 000000005B20: D3D70084 0E13750A
	v_mfma_i32_16x16x32_i8 v[132:135], a[12:13], v[188:189], v[132:135]// 000000005B28: D3D70084 0E13790C
	buffer_load_dword v27, s[20:23], 0 offen lds               // 000000005B30: E0511000 8005001B
	s_add_u32 m0, 0x400, s50                                   // 000000005B38: 807C32FF 00000400
	v_mfma_i32_16x16x32_i8 v[132:135], a[14:15], v[190:191], v[132:135]// 000000005B40: D3D70084 0E137D0E
	v_mfma_i32_16x16x32_i8 v[136:139], a[16:17], v[160:161], v[136:139]// 000000005B48: D3D70088 0E234110
	buffer_load_dwordx4 a[80:83], v33, s[24:27], 0 offen       // 000000005B50: E05C1000 80865021
	v_mfma_i32_16x16x32_i8 v[136:139], a[18:19], v[162:163], v[136:139]// 000000005B58: D3D70088 0E234512
	v_mfma_i32_16x16x32_i8 v[136:139], a[20:21], v[164:165], v[136:139]// 000000005B60: D3D70088 0E234914
	buffer_load_dword v28, s[20:23], 0 offen lds               // 000000005B68: E0511000 8005001C
	s_add_u32 m0, 0x500, s50                                   // 000000005B70: 807C32FF 00000500
	v_mfma_i32_16x16x32_i8 v[136:139], a[22:23], v[166:167], v[136:139]// 000000005B78: D3D70088 0E234D16
	v_mfma_i32_16x16x32_i8 v[136:139], a[24:25], v[168:169], v[136:139]// 000000005B80: D3D70088 0E235118
	buffer_load_dwordx4 a[84:87], v33, s[24:27], 0 offen offset:1024// 000000005B88: E05C1400 80865421
	v_mfma_i32_16x16x32_i8 v[136:139], a[26:27], v[170:171], v[136:139]// 000000005B90: D3D70088 0E23551A
	v_mfma_i32_16x16x32_i8 v[136:139], a[28:29], v[172:173], v[136:139]// 000000005B98: D3D70088 0E23591C
	buffer_load_dword v29, s[20:23], 0 offen lds               // 000000005BA0: E0511000 8005001D
	s_add_u32 m0, 0x600, s50                                   // 000000005BA8: 807C32FF 00000600
	v_mfma_i32_16x16x32_i8 v[136:139], a[30:31], v[174:175], v[136:139]// 000000005BB0: D3D70088 0E235D1E
	v_mfma_i32_16x16x32_i8 v[140:143], a[16:17], v[176:177], v[140:143]// 000000005BB8: D3D7008C 0E336110
	buffer_load_dwordx4 a[88:91], v33, s[24:27], 0 offen offset:2048// 000000005BC0: E05C1800 80865821
	v_mfma_i32_16x16x32_i8 v[140:143], a[18:19], v[178:179], v[140:143]// 000000005BC8: D3D7008C 0E336512
	v_mfma_i32_16x16x32_i8 v[140:143], a[20:21], v[180:181], v[140:143]// 000000005BD0: D3D7008C 0E336914
	buffer_load_dword v30, s[20:23], 0 offen lds               // 000000005BD8: E0511000 8005001E
	s_add_u32 m0, 0x700, s50                                   // 000000005BE0: 807C32FF 00000700
	v_mfma_i32_16x16x32_i8 v[140:143], a[22:23], v[182:183], v[140:143]// 000000005BE8: D3D7008C 0E336D16
	v_mfma_i32_16x16x32_i8 v[140:143], a[24:25], v[184:185], v[140:143]// 000000005BF0: D3D7008C 0E337118
	buffer_load_dwordx4 a[92:95], v33, s[24:27], 0 offen offset:3072// 000000005BF8: E05C1C00 80865C21
	v_mfma_i32_16x16x32_i8 v[140:143], a[26:27], v[186:187], v[140:143]// 000000005C00: D3D7008C 0E33751A
	v_mfma_i32_16x16x32_i8 v[140:143], a[28:29], v[188:189], v[140:143]// 000000005C08: D3D7008C 0E33791C
	buffer_load_dword v31, s[20:23], 0 offen lds               // 000000005C10: E0511000 8005001F
	s_add_u32 m0, 0, s51                                       // 000000005C18: 807C3380
	v_mfma_i32_16x16x32_i8 v[140:143], a[30:31], v[190:191], v[140:143]// 000000005C1C: D3D7008C 0E337D1E
	s_waitcnt vmcnt(20)                                        // 000000005C24: BF8C4F74
	v_mfma_i32_16x16x32_i8 v[144:147], a[32:33], v[160:161], v[144:147]// 000000005C28: D3D70090 0E434120
	buffer_load_dwordx4 a[96:99], v34, s[24:27], 0 offen       // 000000005C30: E05C1000 80866022
	v_mfma_i32_16x16x32_i8 v[144:147], a[34:35], v[162:163], v[144:147]// 000000005C38: D3D70090 0E434522
	v_mfma_i32_16x16x32_i8 v[144:147], a[36:37], v[164:165], v[144:147]// 000000005C40: D3D70090 0E434924
	ds_read_b128 v[192:195], v2 offset:8320                    // 000000005C48: D9FE2080 C0000002
	v_mfma_i32_16x16x32_i8 v[144:147], a[38:39], v[166:167], v[144:147]// 000000005C50: D3D70090 0E434D26
	v_mfma_i32_16x16x32_i8 v[144:147], a[40:41], v[168:169], v[144:147]// 000000005C58: D3D70090 0E435128
	buffer_load_dwordx4 a[100:103], v34, s[24:27], 0 offen offset:1024// 000000005C60: E05C1400 80866422
	v_mfma_i32_16x16x32_i8 v[144:147], a[42:43], v[170:171], v[144:147]// 000000005C68: D3D70090 0E43552A
	v_mfma_i32_16x16x32_i8 v[144:147], a[44:45], v[172:173], v[144:147]// 000000005C70: D3D70090 0E43592C
	ds_read_b128 v[196:199], v2 offset:8384                    // 000000005C78: D9FE20C0 C4000002
	v_mfma_i32_16x16x32_i8 v[144:147], a[46:47], v[174:175], v[144:147]// 000000005C80: D3D70090 0E435D2E
	v_mfma_i32_16x16x32_i8 v[148:151], a[32:33], v[176:177], v[148:151]// 000000005C88: D3D70094 0E536120
	buffer_load_dwordx4 a[104:107], v34, s[24:27], 0 offen offset:2048// 000000005C90: E05C1800 80866822
	v_mfma_i32_16x16x32_i8 v[148:151], a[34:35], v[178:179], v[148:151]// 000000005C98: D3D70094 0E536522
	v_mfma_i32_16x16x32_i8 v[148:151], a[36:37], v[180:181], v[148:151]// 000000005CA0: D3D70094 0E536924
	ds_read_b128 v[200:203], v2 offset:8448                    // 000000005CA8: D9FE2100 C8000002
	v_mfma_i32_16x16x32_i8 v[148:151], a[38:39], v[182:183], v[148:151]// 000000005CB0: D3D70094 0E536D26
	v_mfma_i32_16x16x32_i8 v[148:151], a[40:41], v[184:185], v[148:151]// 000000005CB8: D3D70094 0E537128
	buffer_load_dwordx4 a[108:111], v34, s[24:27], 0 offen offset:3072// 000000005CC0: E05C1C00 80866C22
	v_mfma_i32_16x16x32_i8 v[148:151], a[42:43], v[186:187], v[148:151]// 000000005CC8: D3D70094 0E53752A
	v_mfma_i32_16x16x32_i8 v[148:151], a[44:45], v[188:189], v[148:151]// 000000005CD0: D3D70094 0E53792C
	ds_read_b128 v[204:207], v2 offset:8512                    // 000000005CD8: D9FE2140 CC000002
	v_mfma_i32_16x16x32_i8 v[148:151], a[46:47], v[190:191], v[148:151]// 000000005CE0: D3D70094 0E537D2E
	s_waitcnt vmcnt(20)                                        // 000000005CE8: BF8C4F74
	v_mfma_i32_16x16x32_i8 v[152:155], a[48:49], v[160:161], v[152:155]// 000000005CEC: D3D70098 0E634130
	buffer_load_dwordx4 a[112:115], v35, s[24:27], 0 offen     // 000000005CF4: E05C1000 80867023
	v_mfma_i32_16x16x32_i8 v[152:155], a[50:51], v[162:163], v[152:155]// 000000005CFC: D3D70098 0E634532
	v_mfma_i32_16x16x32_i8 v[152:155], a[52:53], v[164:165], v[152:155]// 000000005D04: D3D70098 0E634934
	ds_read_b128 v[208:211], v2 offset:9344                    // 000000005D0C: D9FE2480 D0000002
	v_mfma_i32_16x16x32_i8 v[152:155], a[54:55], v[166:167], v[152:155]// 000000005D14: D3D70098 0E634D36
	v_mfma_i32_16x16x32_i8 v[152:155], a[56:57], v[168:169], v[152:155]// 000000005D1C: D3D70098 0E635138
	buffer_load_dwordx4 a[116:119], v35, s[24:27], 0 offen offset:1024// 000000005D24: E05C1400 80867423
	v_mfma_i32_16x16x32_i8 v[152:155], a[58:59], v[170:171], v[152:155]// 000000005D2C: D3D70098 0E63553A
	v_mfma_i32_16x16x32_i8 v[152:155], a[60:61], v[172:173], v[152:155]// 000000005D34: D3D70098 0E63593C
	ds_read_b128 v[212:215], v2 offset:9408                    // 000000005D3C: D9FE24C0 D4000002
	v_mfma_i32_16x16x32_i8 v[152:155], a[62:63], v[174:175], v[152:155]// 000000005D44: D3D70098 0E635D3E
	v_mfma_i32_16x16x32_i8 v[156:159], a[48:49], v[176:177], v[156:159]// 000000005D4C: D3D7009C 0E736130
	buffer_load_dwordx4 a[120:123], v35, s[24:27], 0 offen offset:2048// 000000005D54: E05C1800 80867823
	v_mfma_i32_16x16x32_i8 v[156:159], a[50:51], v[178:179], v[156:159]// 000000005D5C: D3D7009C 0E736532
	v_mfma_i32_16x16x32_i8 v[156:159], a[52:53], v[180:181], v[156:159]// 000000005D64: D3D7009C 0E736934
	ds_read_b128 v[216:219], v2 offset:9472                    // 000000005D6C: D9FE2500 D8000002
	v_mfma_i32_16x16x32_i8 v[156:159], a[54:55], v[182:183], v[156:159]// 000000005D74: D3D7009C 0E736D36
	v_mfma_i32_16x16x32_i8 v[156:159], a[56:57], v[184:185], v[156:159]// 000000005D7C: D3D7009C 0E737138
	buffer_load_dwordx4 a[124:127], v35, s[24:27], 0 offen offset:3072// 000000005D84: E05C1C00 80867C23
	v_mfma_i32_16x16x32_i8 v[156:159], a[58:59], v[186:187], v[156:159]// 000000005D8C: D3D7009C 0E73753A
	v_mfma_i32_16x16x32_i8 v[156:159], a[60:61], v[188:189], v[156:159]// 000000005D94: D3D7009C 0E73793C
	ds_read_b128 v[220:223], v2 offset:9536                    // 000000005D9C: D9FE2540 DC000002
	v_mfma_i32_16x16x32_i8 v[156:159], a[62:63], v[190:191], v[156:159]// 000000005DA4: D3D7009C 0E737D3E
	s_add_u32 s60, 0x300, s80                                  // 000000005DAC: 803C50FF 00000300
	s_cmp_lt_u32 s60, s81                                      // 000000005DB4: BF0A513C
	s_cselect_b32 s57, s57, 0                                  // 000000005DB8: 85398039
	s_add_u32 s60, 0x200, s80                                  // 000000005DBC: 803C50FF 00000200
	s_cmp_lt_u32 s60, s81                                      // 000000005DC4: BF0A513C
	s_cselect_b32 s58, s58, 0                                  // 000000005DC8: 853A803A
	s_add_u32 s20, s57, s20                                    // 000000005DCC: 80141439
	s_addc_u32 s21, 0, s21                                     // 000000005DD0: 82151580
	s_add_u32 s24, s58, s24                                    // 000000005DD4: 8018183A
	s_addc_u32 s25, 0, s25                                     // 000000005DD8: 82191980
	s_addk_i32 s80, 0x100                                      // 000000005DDC: B7500100
	s_cmp_lt_i32 s80, s81                                      // 000000005DE0: BF045150
	s_cbranch_scc0 label_0CDD                                  // 000000005DE4: BF8400E3
	s_waitcnt vmcnt(8) lgkmcnt(0)                              // 000000005DE8: BF8C0078
	s_barrier                                                  // 000000005DEC: BF8A0000
	v_mfma_i32_16x16x32_i8 v[128:131], a[64:65], v[192:193], v[128:131]// 000000005DF0: D3D70080 0E038140
	buffer_load_dwordx4 a[0:3], v32, s[24:27], 0 offen         // 000000005DF8: E05C1000 80860020
	v_mfma_i32_16x16x32_i8 v[128:131], a[66:67], v[194:195], v[128:131]// 000000005E00: D3D70080 0E038542
	v_mfma_i32_16x16x32_i8 v[128:131], a[68:69], v[196:197], v[128:131]// 000000005E08: D3D70080 0E038944
	buffer_load_dword v24, s[20:23], 0 offen lds               // 000000005E10: E0511000 80050018
	s_add_u32 m0, 0x100, s51                                   // 000000005E18: 807C33FF 00000100
	v_mfma_i32_16x16x32_i8 v[128:131], a[70:71], v[198:199], v[128:131]// 000000005E20: D3D70080 0E038D46
	v_mfma_i32_16x16x32_i8 v[128:131], a[72:73], v[200:201], v[128:131]// 000000005E28: D3D70080 0E039148
	buffer_load_dwordx4 a[4:7], v32, s[24:27], 0 offen offset:1024// 000000005E30: E05C1400 80860420
	v_mfma_i32_16x16x32_i8 v[128:131], a[74:75], v[202:203], v[128:131]// 000000005E38: D3D70080 0E03954A
	v_mfma_i32_16x16x32_i8 v[128:131], a[76:77], v[204:205], v[128:131]// 000000005E40: D3D70080 0E03994C
	buffer_load_dword v25, s[20:23], 0 offen lds               // 000000005E48: E0511000 80050019
	s_add_u32 m0, 0x200, s51                                   // 000000005E50: 807C33FF 00000200
	v_mfma_i32_16x16x32_i8 v[128:131], a[78:79], v[206:207], v[128:131]// 000000005E58: D3D70080 0E039D4E
	v_mfma_i32_16x16x32_i8 v[132:135], a[64:65], v[208:209], v[132:135]// 000000005E60: D3D70084 0E13A140
	buffer_load_dwordx4 a[8:11], v32, s[24:27], 0 offen offset:2048// 000000005E68: E05C1800 80860820
	v_mfma_i32_16x16x32_i8 v[132:135], a[66:67], v[210:211], v[132:135]// 000000005E70: D3D70084 0E13A542
	v_mfma_i32_16x16x32_i8 v[132:135], a[68:69], v[212:213], v[132:135]// 000000005E78: D3D70084 0E13A944
	buffer_load_dword v26, s[20:23], 0 offen lds               // 000000005E80: E0511000 8005001A
	s_add_u32 m0, 0x300, s51                                   // 000000005E88: 807C33FF 00000300
	v_mfma_i32_16x16x32_i8 v[132:135], a[70:71], v[214:215], v[132:135]// 000000005E90: D3D70084 0E13AD46
	v_mfma_i32_16x16x32_i8 v[132:135], a[72:73], v[216:217], v[132:135]// 000000005E98: D3D70084 0E13B148
	buffer_load_dwordx4 a[12:15], v32, s[24:27], 0 offen offset:3072// 000000005EA0: E05C1C00 80860C20
	v_mfma_i32_16x16x32_i8 v[132:135], a[74:75], v[218:219], v[132:135]// 000000005EA8: D3D70084 0E13B54A
	v_mfma_i32_16x16x32_i8 v[132:135], a[76:77], v[220:221], v[132:135]// 000000005EB0: D3D70084 0E13B94C
	buffer_load_dword v27, s[20:23], 0 offen lds               // 000000005EB8: E0511000 8005001B
	s_add_u32 m0, 0x400, s51                                   // 000000005EC0: 807C33FF 00000400
	v_mfma_i32_16x16x32_i8 v[132:135], a[78:79], v[222:223], v[132:135]// 000000005EC8: D3D70084 0E13BD4E
	v_mfma_i32_16x16x32_i8 v[136:139], a[80:81], v[192:193], v[136:139]// 000000005ED0: D3D70088 0E238150
	buffer_load_dwordx4 a[16:19], v33, s[24:27], 0 offen       // 000000005ED8: E05C1000 80861021
	v_mfma_i32_16x16x32_i8 v[136:139], a[82:83], v[194:195], v[136:139]// 000000005EE0: D3D70088 0E238552
	v_mfma_i32_16x16x32_i8 v[136:139], a[84:85], v[196:197], v[136:139]// 000000005EE8: D3D70088 0E238954
	buffer_load_dword v28, s[20:23], 0 offen lds               // 000000005EF0: E0511000 8005001C
	s_add_u32 m0, 0x500, s51                                   // 000000005EF8: 807C33FF 00000500
	v_mfma_i32_16x16x32_i8 v[136:139], a[86:87], v[198:199], v[136:139]// 000000005F00: D3D70088 0E238D56
	v_mfma_i32_16x16x32_i8 v[136:139], a[88:89], v[200:201], v[136:139]// 000000005F08: D3D70088 0E239158
	buffer_load_dwordx4 a[20:23], v33, s[24:27], 0 offen offset:1024// 000000005F10: E05C1400 80861421
	v_mfma_i32_16x16x32_i8 v[136:139], a[90:91], v[202:203], v[136:139]// 000000005F18: D3D70088 0E23955A
	v_mfma_i32_16x16x32_i8 v[136:139], a[92:93], v[204:205], v[136:139]// 000000005F20: D3D70088 0E23995C
	buffer_load_dword v29, s[20:23], 0 offen lds               // 000000005F28: E0511000 8005001D
	s_add_u32 m0, 0x600, s51                                   // 000000005F30: 807C33FF 00000600
	v_mfma_i32_16x16x32_i8 v[136:139], a[94:95], v[206:207], v[136:139]// 000000005F38: D3D70088 0E239D5E
	v_mfma_i32_16x16x32_i8 v[140:143], a[80:81], v[208:209], v[140:143]// 000000005F40: D3D7008C 0E33A150
	buffer_load_dwordx4 a[24:27], v33, s[24:27], 0 offen offset:2048// 000000005F48: E05C1800 80861821
	v_mfma_i32_16x16x32_i8 v[140:143], a[82:83], v[210:211], v[140:143]// 000000005F50: D3D7008C 0E33A552
	v_mfma_i32_16x16x32_i8 v[140:143], a[84:85], v[212:213], v[140:143]// 000000005F58: D3D7008C 0E33A954
	buffer_load_dword v30, s[20:23], 0 offen lds               // 000000005F60: E0511000 8005001E
	s_add_u32 m0, 0x700, s51                                   // 000000005F68: 807C33FF 00000700
	v_mfma_i32_16x16x32_i8 v[140:143], a[86:87], v[214:215], v[140:143]// 000000005F70: D3D7008C 0E33AD56
	v_mfma_i32_16x16x32_i8 v[140:143], a[88:89], v[216:217], v[140:143]// 000000005F78: D3D7008C 0E33B158
	buffer_load_dwordx4 a[28:31], v33, s[24:27], 0 offen offset:3072// 000000005F80: E05C1C00 80861C21
	v_mfma_i32_16x16x32_i8 v[140:143], a[90:91], v[218:219], v[140:143]// 000000005F88: D3D7008C 0E33B55A
	v_mfma_i32_16x16x32_i8 v[140:143], a[92:93], v[220:221], v[140:143]// 000000005F90: D3D7008C 0E33B95C
	buffer_load_dword v31, s[20:23], 0 offen lds               // 000000005F98: E0511000 8005001F
	s_add_u32 m0, 0, s50                                       // 000000005FA0: 807C3280
	v_mfma_i32_16x16x32_i8 v[140:143], a[94:95], v[222:223], v[140:143]// 000000005FA4: D3D7008C 0E33BD5E
	s_waitcnt vmcnt(20)                                        // 000000005FAC: BF8C4F74
	v_mfma_i32_16x16x32_i8 v[144:147], a[96:97], v[192:193], v[144:147]// 000000005FB0: D3D70090 0E438160
	buffer_load_dwordx4 a[32:35], v34, s[24:27], 0 offen       // 000000005FB8: E05C1000 80862022
	v_mfma_i32_16x16x32_i8 v[144:147], a[98:99], v[194:195], v[144:147]// 000000005FC0: D3D70090 0E438562
	v_mfma_i32_16x16x32_i8 v[144:147], a[100:101], v[196:197], v[144:147]// 000000005FC8: D3D70090 0E438964
	ds_read_b128 v[160:163], v2                                // 000000005FD0: D9FE0000 A0000002
	v_mfma_i32_16x16x32_i8 v[144:147], a[102:103], v[198:199], v[144:147]// 000000005FD8: D3D70090 0E438D66
	v_mfma_i32_16x16x32_i8 v[144:147], a[104:105], v[200:201], v[144:147]// 000000005FE0: D3D70090 0E439168
	buffer_load_dwordx4 a[36:39], v34, s[24:27], 0 offen offset:1024// 000000005FE8: E05C1400 80862422
	v_mfma_i32_16x16x32_i8 v[144:147], a[106:107], v[202:203], v[144:147]// 000000005FF0: D3D70090 0E43956A
	v_mfma_i32_16x16x32_i8 v[144:147], a[108:109], v[204:205], v[144:147]// 000000005FF8: D3D70090 0E43996C
	ds_read_b128 v[164:167], v2 offset:64                      // 000000006000: D9FE0040 A4000002
	v_mfma_i32_16x16x32_i8 v[144:147], a[110:111], v[206:207], v[144:147]// 000000006008: D3D70090 0E439D6E
	v_mfma_i32_16x16x32_i8 v[148:151], a[96:97], v[208:209], v[148:151]// 000000006010: D3D70094 0E53A160
	buffer_load_dwordx4 a[40:43], v34, s[24:27], 0 offen offset:2048// 000000006018: E05C1800 80862822
	v_mfma_i32_16x16x32_i8 v[148:151], a[98:99], v[210:211], v[148:151]// 000000006020: D3D70094 0E53A562
	v_mfma_i32_16x16x32_i8 v[148:151], a[100:101], v[212:213], v[148:151]// 000000006028: D3D70094 0E53A964
	ds_read_b128 v[168:171], v2 offset:128                     // 000000006030: D9FE0080 A8000002
	v_mfma_i32_16x16x32_i8 v[148:151], a[102:103], v[214:215], v[148:151]// 000000006038: D3D70094 0E53AD66
	v_mfma_i32_16x16x32_i8 v[148:151], a[104:105], v[216:217], v[148:151]// 000000006040: D3D70094 0E53B168
	buffer_load_dwordx4 a[44:47], v34, s[24:27], 0 offen offset:3072// 000000006048: E05C1C00 80862C22
	v_mfma_i32_16x16x32_i8 v[148:151], a[106:107], v[218:219], v[148:151]// 000000006050: D3D70094 0E53B56A
	v_mfma_i32_16x16x32_i8 v[148:151], a[108:109], v[220:221], v[148:151]// 000000006058: D3D70094 0E53B96C
	ds_read_b128 v[172:175], v2 offset:192                     // 000000006060: D9FE00C0 AC000002
	v_mfma_i32_16x16x32_i8 v[148:151], a[110:111], v[222:223], v[148:151]// 000000006068: D3D70094 0E53BD6E
	s_waitcnt vmcnt(20)                                        // 000000006070: BF8C4F74
	v_mfma_i32_16x16x32_i8 v[152:155], a[112:113], v[192:193], v[152:155]// 000000006074: D3D70098 0E638170
	buffer_load_dwordx4 a[48:51], v35, s[24:27], 0 offen       // 00000000607C: E05C1000 80863023
	v_mfma_i32_16x16x32_i8 v[152:155], a[114:115], v[194:195], v[152:155]// 000000006084: D3D70098 0E638572
	v_mfma_i32_16x16x32_i8 v[152:155], a[116:117], v[196:197], v[152:155]// 00000000608C: D3D70098 0E638974
	ds_read_b128 v[176:179], v2 offset:1024                    // 000000006094: D9FE0400 B0000002
	v_mfma_i32_16x16x32_i8 v[152:155], a[118:119], v[198:199], v[152:155]// 00000000609C: D3D70098 0E638D76
	v_mfma_i32_16x16x32_i8 v[152:155], a[120:121], v[200:201], v[152:155]// 0000000060A4: D3D70098 0E639178
	buffer_load_dwordx4 a[52:55], v35, s[24:27], 0 offen offset:1024// 0000000060AC: E05C1400 80863423
	v_mfma_i32_16x16x32_i8 v[152:155], a[122:123], v[202:203], v[152:155]// 0000000060B4: D3D70098 0E63957A
	v_mfma_i32_16x16x32_i8 v[152:155], a[124:125], v[204:205], v[152:155]// 0000000060BC: D3D70098 0E63997C
	ds_read_b128 v[180:183], v2 offset:1088                    // 0000000060C4: D9FE0440 B4000002
	v_mfma_i32_16x16x32_i8 v[152:155], a[126:127], v[206:207], v[152:155]// 0000000060CC: D3D70098 0E639D7E
	v_mfma_i32_16x16x32_i8 v[156:159], a[112:113], v[208:209], v[156:159]// 0000000060D4: D3D7009C 0E73A170
	buffer_load_dwordx4 a[56:59], v35, s[24:27], 0 offen offset:2048// 0000000060DC: E05C1800 80863823
	v_mfma_i32_16x16x32_i8 v[156:159], a[114:115], v[210:211], v[156:159]// 0000000060E4: D3D7009C 0E73A572
	v_mfma_i32_16x16x32_i8 v[156:159], a[116:117], v[212:213], v[156:159]// 0000000060EC: D3D7009C 0E73A974
	ds_read_b128 v[184:187], v2 offset:1152                    // 0000000060F4: D9FE0480 B8000002
	v_mfma_i32_16x16x32_i8 v[156:159], a[118:119], v[214:215], v[156:159]// 0000000060FC: D3D7009C 0E73AD76
	v_mfma_i32_16x16x32_i8 v[156:159], a[120:121], v[216:217], v[156:159]// 000000006104: D3D7009C 0E73B178
	buffer_load_dwordx4 a[60:63], v35, s[24:27], 0 offen offset:3072// 00000000610C: E05C1C00 80863C23
	v_mfma_i32_16x16x32_i8 v[156:159], a[122:123], v[218:219], v[156:159]// 000000006114: D3D7009C 0E73B57A
	v_mfma_i32_16x16x32_i8 v[156:159], a[124:125], v[220:221], v[156:159]// 00000000611C: D3D7009C 0E73B97C
	ds_read_b128 v[188:191], v2 offset:1216                    // 000000006124: D9FE04C0 BC000002
	v_mfma_i32_16x16x32_i8 v[156:159], a[126:127], v[222:223], v[156:159]// 00000000612C: D3D7009C 0E73BD7E
	s_add_u32 s60, 0x300, s80                                  // 000000006134: 803C50FF 00000300
	s_cmp_lt_u32 s60, s81                                      // 00000000613C: BF0A513C
	s_cselect_b32 s57, s57, 0                                  // 000000006140: 85398039
	s_add_u32 s60, 0x200, s80                                  // 000000006144: 803C50FF 00000200
	s_cmp_lt_u32 s60, s81                                      // 00000000614C: BF0A513C
	s_cselect_b32 s58, s58, 0                                  // 000000006150: 853A803A
	s_add_u32 s20, s57, s20                                    // 000000006154: 80141439
	s_addc_u32 s21, 0, s21                                     // 000000006158: 82151580
	s_add_u32 s24, s58, s24                                    // 00000000615C: 8018183A
	s_addc_u32 s25, 0, s25                                     // 000000006160: 82191980
	s_addk_i32 s80, 0x100                                      // 000000006164: B7500100
	s_cmp_lt_i32 s80, s81                                      // 000000006168: BF045150
	s_cbranch_scc0 label_0CDD                                  // 00000000616C: BF840001
	s_branch label_0B18                                        // 000000006170: BF82FE3B

0000000000006174 <label_0CDD>:
	s_mov_b32 s36, -1                                          // 000000006174: BEA400C1
	s_mov_b32 s37, -1                                          // 000000006178: BEA500C1
	s_mov_b64 s[60:61], 0                                      // 00000000617C: BEBC0180
	s_cmp_lt_u32 s82, s66                                      // 000000006180: BF0A4252
	s_cselect_b64 s[20:21], s[36:37], s[60:61]                 // 000000006184: 85943C24
	s_cmp_lt_u32 s83, s66                                      // 000000006188: BF0A4253
	s_cselect_b64 s[22:23], s[36:37], s[60:61]                 // 00000000618C: 85963C24
	s_cmp_lt_u32 s84, s66                                      // 000000006190: BF0A4254
	s_cselect_b64 s[24:25], s[36:37], s[60:61]                 // 000000006194: 85983C24
	s_cmp_lt_u32 s85, s66                                      // 000000006198: BF0A4255
	s_cselect_b64 s[26:27], s[36:37], s[60:61]                 // 00000000619C: 859A3C24
	s_cmp_lt_u32 s86, s66                                      // 0000000061A0: BF0A4256
	s_cselect_b64 s[28:29], s[36:37], s[60:61]                 // 0000000061A4: 859C3C24
	s_cmp_lt_u32 s87, s66                                      // 0000000061A8: BF0A4257
	s_cselect_b64 s[30:31], s[36:37], s[60:61]                 // 0000000061AC: 859E3C24
	s_cmp_lt_u32 s88, s66                                      // 0000000061B0: BF0A4258
	s_cselect_b64 s[32:33], s[36:37], s[60:61]                 // 0000000061B4: 85A03C24
	s_cmp_lt_u32 s89, s66                                      // 0000000061B8: BF0A4259
	s_cselect_b64 s[34:35], s[36:37], s[60:61]                 // 0000000061BC: 85A23C24
	v_cvt_f32_i32_e32 v128, v128                               // 0000000061C0: 7F000B80
	v_cvt_f32_i32_e32 v129, v129                               // 0000000061C4: 7F020B81
	v_cvt_f32_i32_e32 v130, v130                               // 0000000061C8: 7F040B82
	v_cvt_f32_i32_e32 v131, v131                               // 0000000061CC: 7F060B83
	v_mul_f32_e32 v128, v13, v128                              // 0000000061D0: 0B01010D
	v_mul_f32_e32 v129, v13, v129                              // 0000000061D4: 0B03030D
	v_mul_f32_e32 v130, v13, v130                              // 0000000061D8: 0B05050D
	v_mul_f32_e32 v131, v13, v131                              // 0000000061DC: 0B07070D
	v_mul_f32_dpp v128, v15, v128 row_newbcast:0 row_mask:0xf bank_mask:0xf// 0000000061E0: 0B0100FA FF01500F
	v_mul_f32_dpp v129, v15, v129 row_newbcast:1 row_mask:0xf bank_mask:0xf// 0000000061E8: 0B0302FA FF01510F
	v_mul_f32_dpp v130, v15, v130 row_newbcast:2 row_mask:0xf bank_mask:0xf// 0000000061F0: 0B0504FA FF01520F
	v_mul_f32_dpp v131, v15, v131 row_newbcast:3 row_mask:0xf bank_mask:0xf// 0000000061F8: 0B0706FA FF01530F
	v_cvt_f32_i32_e32 v132, v132                               // 000000006200: 7F080B84
	v_cvt_f32_i32_e32 v133, v133                               // 000000006204: 7F0A0B85
	v_cvt_f32_i32_e32 v134, v134                               // 000000006208: 7F0C0B86
	v_cvt_f32_i32_e32 v135, v135                               // 00000000620C: 7F0E0B87
	v_mul_f32_e32 v132, v14, v132                              // 000000006210: 0B09090E
	v_mul_f32_e32 v133, v14, v133                              // 000000006214: 0B0B0B0E
	v_mul_f32_e32 v134, v14, v134                              // 000000006218: 0B0D0D0E
	v_mul_f32_e32 v135, v14, v135                              // 00000000621C: 0B0F0F0E
	v_mul_f32_dpp v132, v15, v132 row_newbcast:0 row_mask:0xf bank_mask:0xf// 000000006220: 0B0908FA FF01500F
	v_mul_f32_dpp v133, v15, v133 row_newbcast:1 row_mask:0xf bank_mask:0xf// 000000006228: 0B0B0AFA FF01510F
	v_mul_f32_dpp v134, v15, v134 row_newbcast:2 row_mask:0xf bank_mask:0xf// 000000006230: 0B0D0CFA FF01520F
	v_mul_f32_dpp v135, v15, v135 row_newbcast:3 row_mask:0xf bank_mask:0xf// 000000006238: 0B0F0EFA FF01530F
	v_cvt_f32_i32_e32 v136, v136                               // 000000006240: 7F100B88
	v_cvt_f32_i32_e32 v137, v137                               // 000000006244: 7F120B89
	v_cvt_f32_i32_e32 v138, v138                               // 000000006248: 7F140B8A
	v_cvt_f32_i32_e32 v139, v139                               // 00000000624C: 7F160B8B
	v_mul_f32_e32 v136, v13, v136                              // 000000006250: 0B11110D
	v_mul_f32_e32 v137, v13, v137                              // 000000006254: 0B13130D
	v_mul_f32_e32 v138, v13, v138                              // 000000006258: 0B15150D
	v_mul_f32_e32 v139, v13, v139                              // 00000000625C: 0B17170D
	v_mul_f32_dpp v136, v15, v136 row_newbcast:4 row_mask:0xf bank_mask:0xf// 000000006260: 0B1110FA FF01540F
	v_mul_f32_dpp v137, v15, v137 row_newbcast:5 row_mask:0xf bank_mask:0xf// 000000006268: 0B1312FA FF01550F
	v_mul_f32_dpp v138, v15, v138 row_newbcast:6 row_mask:0xf bank_mask:0xf// 000000006270: 0B1514FA FF01560F
	v_mul_f32_dpp v139, v15, v139 row_newbcast:7 row_mask:0xf bank_mask:0xf// 000000006278: 0B1716FA FF01570F
	v_cvt_f32_i32_e32 v140, v140                               // 000000006280: 7F180B8C
	v_cvt_f32_i32_e32 v141, v141                               // 000000006284: 7F1A0B8D
	v_cvt_f32_i32_e32 v142, v142                               // 000000006288: 7F1C0B8E
	v_cvt_f32_i32_e32 v143, v143                               // 00000000628C: 7F1E0B8F
	v_mul_f32_e32 v140, v14, v140                              // 000000006290: 0B19190E
	v_mul_f32_e32 v141, v14, v141                              // 000000006294: 0B1B1B0E
	v_mul_f32_e32 v142, v14, v142                              // 000000006298: 0B1D1D0E
	v_mul_f32_e32 v143, v14, v143                              // 00000000629C: 0B1F1F0E
	v_mul_f32_dpp v140, v15, v140 row_newbcast:4 row_mask:0xf bank_mask:0xf// 0000000062A0: 0B1918FA FF01540F
	v_mul_f32_dpp v141, v15, v141 row_newbcast:5 row_mask:0xf bank_mask:0xf// 0000000062A8: 0B1B1AFA FF01550F
	v_mul_f32_dpp v142, v15, v142 row_newbcast:6 row_mask:0xf bank_mask:0xf// 0000000062B0: 0B1D1CFA FF01560F
	v_mul_f32_dpp v143, v15, v143 row_newbcast:7 row_mask:0xf bank_mask:0xf// 0000000062B8: 0B1F1EFA FF01570F
	v_cvt_f32_i32_e32 v144, v144                               // 0000000062C0: 7F200B90
	v_cvt_f32_i32_e32 v145, v145                               // 0000000062C4: 7F220B91
	v_cvt_f32_i32_e32 v146, v146                               // 0000000062C8: 7F240B92
	v_cvt_f32_i32_e32 v147, v147                               // 0000000062CC: 7F260B93
	v_mul_f32_e32 v144, v13, v144                              // 0000000062D0: 0B21210D
	v_mul_f32_e32 v145, v13, v145                              // 0000000062D4: 0B23230D
	v_mul_f32_e32 v146, v13, v146                              // 0000000062D8: 0B25250D
	v_mul_f32_e32 v147, v13, v147                              // 0000000062DC: 0B27270D
	v_mul_f32_dpp v144, v15, v144 row_newbcast:8 row_mask:0xf bank_mask:0xf// 0000000062E0: 0B2120FA FF01580F
	v_mul_f32_dpp v145, v15, v145 row_newbcast:9 row_mask:0xf bank_mask:0xf// 0000000062E8: 0B2322FA FF01590F
	v_mul_f32_dpp v146, v15, v146 row_newbcast:10 row_mask:0xf bank_mask:0xf// 0000000062F0: 0B2524FA FF015A0F
	v_mul_f32_dpp v147, v15, v147 row_newbcast:11 row_mask:0xf bank_mask:0xf// 0000000062F8: 0B2726FA FF015B0F
	v_cvt_f32_i32_e32 v148, v148                               // 000000006300: 7F280B94
	v_cvt_f32_i32_e32 v149, v149                               // 000000006304: 7F2A0B95
	v_cvt_f32_i32_e32 v150, v150                               // 000000006308: 7F2C0B96
	v_cvt_f32_i32_e32 v151, v151                               // 00000000630C: 7F2E0B97
	v_mul_f32_e32 v148, v14, v148                              // 000000006310: 0B29290E
	v_mul_f32_e32 v149, v14, v149                              // 000000006314: 0B2B2B0E
	v_mul_f32_e32 v150, v14, v150                              // 000000006318: 0B2D2D0E
	v_mul_f32_e32 v151, v14, v151                              // 00000000631C: 0B2F2F0E
	v_mul_f32_dpp v148, v15, v148 row_newbcast:8 row_mask:0xf bank_mask:0xf// 000000006320: 0B2928FA FF01580F
	v_mul_f32_dpp v149, v15, v149 row_newbcast:9 row_mask:0xf bank_mask:0xf// 000000006328: 0B2B2AFA FF01590F
	v_mul_f32_dpp v150, v15, v150 row_newbcast:10 row_mask:0xf bank_mask:0xf// 000000006330: 0B2D2CFA FF015A0F
	v_mul_f32_dpp v151, v15, v151 row_newbcast:11 row_mask:0xf bank_mask:0xf// 000000006338: 0B2F2EFA FF015B0F
	v_cvt_f32_i32_e32 v152, v152                               // 000000006340: 7F300B98
	v_cvt_f32_i32_e32 v153, v153                               // 000000006344: 7F320B99
	v_cvt_f32_i32_e32 v154, v154                               // 000000006348: 7F340B9A
	v_cvt_f32_i32_e32 v155, v155                               // 00000000634C: 7F360B9B
	v_mul_f32_e32 v152, v13, v152                              // 000000006350: 0B31310D
	v_mul_f32_e32 v153, v13, v153                              // 000000006354: 0B33330D
	v_mul_f32_e32 v154, v13, v154                              // 000000006358: 0B35350D
	v_mul_f32_e32 v155, v13, v155                              // 00000000635C: 0B37370D
	v_mul_f32_dpp v152, v15, v152 row_newbcast:12 row_mask:0xf bank_mask:0xf// 000000006360: 0B3130FA FF015C0F
	v_mul_f32_dpp v153, v15, v153 row_newbcast:13 row_mask:0xf bank_mask:0xf// 000000006368: 0B3332FA FF015D0F
	v_mul_f32_dpp v154, v15, v154 row_newbcast:14 row_mask:0xf bank_mask:0xf// 000000006370: 0B3534FA FF015E0F
	v_mul_f32_dpp v155, v15, v155 row_newbcast:15 row_mask:0xf bank_mask:0xf// 000000006378: 0B3736FA FF015F0F
	v_cvt_f32_i32_e32 v156, v156                               // 000000006380: 7F380B9C
	v_cvt_f32_i32_e32 v157, v157                               // 000000006384: 7F3A0B9D
	v_cvt_f32_i32_e32 v158, v158                               // 000000006388: 7F3C0B9E
	v_cvt_f32_i32_e32 v159, v159                               // 00000000638C: 7F3E0B9F
	v_mul_f32_e32 v156, v14, v156                              // 000000006390: 0B39390E
	v_mul_f32_e32 v157, v14, v157                              // 000000006394: 0B3B3B0E
	v_mul_f32_e32 v158, v14, v158                              // 000000006398: 0B3D3D0E
	v_mul_f32_e32 v159, v14, v159                              // 00000000639C: 0B3F3F0E
	v_mul_f32_dpp v156, v15, v156 row_newbcast:12 row_mask:0xf bank_mask:0xf// 0000000063A0: 0B3938FA FF015C0F
	v_mul_f32_dpp v157, v15, v157 row_newbcast:13 row_mask:0xf bank_mask:0xf// 0000000063A8: 0B3B3AFA FF015D0F
	v_mul_f32_dpp v158, v15, v158 row_newbcast:14 row_mask:0xf bank_mask:0xf// 0000000063B0: 0B3D3CFA FF015E0F
	v_mul_f32_dpp v159, v15, v159 row_newbcast:15 row_mask:0xf bank_mask:0xf// 0000000063B8: 0B3F3EFA FF015F0F
	s_waitcnt vmcnt(12)                                        // 0000000063C0: BF8C0F7C
	buffer_load_dwordx4 a[0:3], v36, s[12:15], 0 offen         // 0000000063C4: E05C1000 80830024
	v_mul_f32_e64 v44, -v128, s6                               // 0000000063CC: D105002C 20000D80
	v_mul_f32_e64 v45, -v129, s6                               // 0000000063D4: D105002D 20000D81
	v_mul_f32_e64 v46, -v130, s6                               // 0000000063DC: D105002E 20000D82
	v_mul_f32_e64 v47, -v131, s6                               // 0000000063E4: D105002F 20000D83
	v_exp_f32_e32 v44, v44                                     // 0000000063EC: 7E58412C
	v_exp_f32_e32 v45, v45                                     // 0000000063F0: 7E5A412D
	v_exp_f32_e32 v46, v46                                     // 0000000063F4: 7E5C412E
	v_exp_f32_e32 v47, v47                                     // 0000000063F8: 7E5E412F
	buffer_load_dwordx4 a[4:7], v37, s[12:15], 0 offen         // 0000000063FC: E05C1000 80830425
	v_add_f32_e64 v44, v44, 1.0                                // 000000006404: D101002C 0001E52C
	v_add_f32_e64 v45, v45, 1.0                                // 00000000640C: D101002D 0001E52D
	v_add_f32_e64 v46, v46, 1.0                                // 000000006414: D101002E 0001E52E
	v_add_f32_e64 v47, v47, 1.0                                // 00000000641C: D101002F 0001E52F
	v_rcp_f32_e32 v44, v44                                     // 000000006424: 7E58452C
	v_rcp_f32_e32 v45, v45                                     // 000000006428: 7E5A452D
	v_rcp_f32_e32 v46, v46                                     // 00000000642C: 7E5C452E
	v_rcp_f32_e32 v47, v47                                     // 000000006430: 7E5E452F
	v_mul_f32_e32 v128, v128, v44                              // 000000006434: 0B005980
	v_mul_f32_e32 v129, v129, v45                              // 000000006438: 0B025B81
	v_mul_f32_e32 v130, v130, v46                              // 00000000643C: 0B045D82
	v_mul_f32_e32 v131, v131, v47                              // 000000006440: 0B065F83
	buffer_load_dwordx4 a[8:11], v38, s[12:15], 0 offen        // 000000006444: E05C1000 80830826
	v_mul_f32_e64 v44, -v132, s6                               // 00000000644C: D105002C 20000D84
	v_mul_f32_e64 v45, -v133, s6                               // 000000006454: D105002D 20000D85
	v_mul_f32_e64 v46, -v134, s6                               // 00000000645C: D105002E 20000D86
	v_mul_f32_e64 v47, -v135, s6                               // 000000006464: D105002F 20000D87
	v_exp_f32_e32 v44, v44                                     // 00000000646C: 7E58412C
	v_exp_f32_e32 v45, v45                                     // 000000006470: 7E5A412D
	v_exp_f32_e32 v46, v46                                     // 000000006474: 7E5C412E
	v_exp_f32_e32 v47, v47                                     // 000000006478: 7E5E412F
	buffer_load_dwordx4 a[12:15], v39, s[12:15], 0 offen       // 00000000647C: E05C1000 80830C27
	s_add_u32 s12, s78, s12                                    // 000000006484: 800C0C4E
	s_addc_u32 s13, 0, s13                                     // 000000006488: 820D0D80
	v_add_f32_e64 v44, v44, 1.0                                // 00000000648C: D101002C 0001E52C
	v_add_f32_e64 v45, v45, 1.0                                // 000000006494: D101002D 0001E52D
	v_add_f32_e64 v46, v46, 1.0                                // 00000000649C: D101002E 0001E52E
	v_add_f32_e64 v47, v47, 1.0                                // 0000000064A4: D101002F 0001E52F
	v_rcp_f32_e32 v44, v44                                     // 0000000064AC: 7E58452C
	v_rcp_f32_e32 v45, v45                                     // 0000000064B0: 7E5A452D
	v_rcp_f32_e32 v46, v46                                     // 0000000064B4: 7E5C452E
	v_rcp_f32_e32 v47, v47                                     // 0000000064B8: 7E5E452F
	v_mul_f32_e32 v132, v132, v44                              // 0000000064BC: 0B085984
	v_mul_f32_e32 v133, v133, v45                              // 0000000064C0: 0B0A5B85
	v_mul_f32_e32 v134, v134, v46                              // 0000000064C4: 0B0C5D86
	v_mul_f32_e32 v135, v135, v47                              // 0000000064C8: 0B0E5F87
	s_waitcnt vmcnt(12)                                        // 0000000064CC: BF8C0F7C
	buffer_load_dwordx4 a[16:19], v36, s[12:15], 0 offen       // 0000000064D0: E05C1000 80831024
	v_mul_f32_e64 v44, -v136, s6                               // 0000000064D8: D105002C 20000D88
	v_mul_f32_e64 v45, -v137, s6                               // 0000000064E0: D105002D 20000D89
	v_mul_f32_e64 v46, -v138, s6                               // 0000000064E8: D105002E 20000D8A
	v_mul_f32_e64 v47, -v139, s6                               // 0000000064F0: D105002F 20000D8B
	v_exp_f32_e32 v44, v44                                     // 0000000064F8: 7E58412C
	v_exp_f32_e32 v45, v45                                     // 0000000064FC: 7E5A412D
	v_exp_f32_e32 v46, v46                                     // 000000006500: 7E5C412E
	v_exp_f32_e32 v47, v47                                     // 000000006504: 7E5E412F
	buffer_load_dwordx4 a[20:23], v37, s[12:15], 0 offen       // 000000006508: E05C1000 80831425
	v_add_f32_e64 v44, v44, 1.0                                // 000000006510: D101002C 0001E52C
	v_add_f32_e64 v45, v45, 1.0                                // 000000006518: D101002D 0001E52D
	v_add_f32_e64 v46, v46, 1.0                                // 000000006520: D101002E 0001E52E
	v_add_f32_e64 v47, v47, 1.0                                // 000000006528: D101002F 0001E52F
	v_rcp_f32_e32 v44, v44                                     // 000000006530: 7E58452C
	v_rcp_f32_e32 v45, v45                                     // 000000006534: 7E5A452D
	v_rcp_f32_e32 v46, v46                                     // 000000006538: 7E5C452E
	v_rcp_f32_e32 v47, v47                                     // 00000000653C: 7E5E452F
	v_mul_f32_e32 v136, v136, v44                              // 000000006540: 0B105988
	v_mul_f32_e32 v137, v137, v45                              // 000000006544: 0B125B89
	v_mul_f32_e32 v138, v138, v46                              // 000000006548: 0B145D8A
	v_mul_f32_e32 v139, v139, v47                              // 00000000654C: 0B165F8B
	buffer_load_dwordx4 a[24:27], v38, s[12:15], 0 offen       // 000000006550: E05C1000 80831826
	v_mul_f32_e64 v44, -v140, s6                               // 000000006558: D105002C 20000D8C
	v_mul_f32_e64 v45, -v141, s6                               // 000000006560: D105002D 20000D8D
	v_mul_f32_e64 v46, -v142, s6                               // 000000006568: D105002E 20000D8E
	v_mul_f32_e64 v47, -v143, s6                               // 000000006570: D105002F 20000D8F
	v_exp_f32_e32 v44, v44                                     // 000000006578: 7E58412C
	v_exp_f32_e32 v45, v45                                     // 00000000657C: 7E5A412D
	v_exp_f32_e32 v46, v46                                     // 000000006580: 7E5C412E
	v_exp_f32_e32 v47, v47                                     // 000000006584: 7E5E412F
	buffer_load_dwordx4 a[28:31], v39, s[12:15], 0 offen       // 000000006588: E05C1000 80831C27
	s_add_u32 s12, s78, s12                                    // 000000006590: 800C0C4E
	s_addc_u32 s13, 0, s13                                     // 000000006594: 820D0D80
	v_add_f32_e64 v44, v44, 1.0                                // 000000006598: D101002C 0001E52C
	v_add_f32_e64 v45, v45, 1.0                                // 0000000065A0: D101002D 0001E52D
	v_add_f32_e64 v46, v46, 1.0                                // 0000000065A8: D101002E 0001E52E
	v_add_f32_e64 v47, v47, 1.0                                // 0000000065B0: D101002F 0001E52F
	v_rcp_f32_e32 v44, v44                                     // 0000000065B8: 7E58452C
	v_rcp_f32_e32 v45, v45                                     // 0000000065BC: 7E5A452D
	v_rcp_f32_e32 v46, v46                                     // 0000000065C0: 7E5C452E
	v_rcp_f32_e32 v47, v47                                     // 0000000065C4: 7E5E452F
	v_mul_f32_e32 v140, v140, v44                              // 0000000065C8: 0B18598C
	v_mul_f32_e32 v141, v141, v45                              // 0000000065CC: 0B1A5B8D
	v_mul_f32_e32 v142, v142, v46                              // 0000000065D0: 0B1C5D8E
	v_mul_f32_e32 v143, v143, v47                              // 0000000065D4: 0B1E5F8F
	s_waitcnt vmcnt(12)                                        // 0000000065D8: BF8C0F7C
	buffer_load_dwordx4 a[32:35], v36, s[12:15], 0 offen       // 0000000065DC: E05C1000 80832024
	v_mul_f32_e64 v44, -v144, s6                               // 0000000065E4: D105002C 20000D90
	v_mul_f32_e64 v45, -v145, s6                               // 0000000065EC: D105002D 20000D91
	v_mul_f32_e64 v46, -v146, s6                               // 0000000065F4: D105002E 20000D92
	v_mul_f32_e64 v47, -v147, s6                               // 0000000065FC: D105002F 20000D93
	v_exp_f32_e32 v44, v44                                     // 000000006604: 7E58412C
	v_exp_f32_e32 v45, v45                                     // 000000006608: 7E5A412D
	v_exp_f32_e32 v46, v46                                     // 00000000660C: 7E5C412E
	v_exp_f32_e32 v47, v47                                     // 000000006610: 7E5E412F
	buffer_load_dwordx4 a[36:39], v37, s[12:15], 0 offen       // 000000006614: E05C1000 80832425
	v_add_f32_e64 v44, v44, 1.0                                // 00000000661C: D101002C 0001E52C
	v_add_f32_e64 v45, v45, 1.0                                // 000000006624: D101002D 0001E52D
	v_add_f32_e64 v46, v46, 1.0                                // 00000000662C: D101002E 0001E52E
	v_add_f32_e64 v47, v47, 1.0                                // 000000006634: D101002F 0001E52F
	v_rcp_f32_e32 v44, v44                                     // 00000000663C: 7E58452C
	v_rcp_f32_e32 v45, v45                                     // 000000006640: 7E5A452D
	v_rcp_f32_e32 v46, v46                                     // 000000006644: 7E5C452E
	v_rcp_f32_e32 v47, v47                                     // 000000006648: 7E5E452F
	v_mul_f32_e32 v144, v144, v44                              // 00000000664C: 0B205990
	v_mul_f32_e32 v145, v145, v45                              // 000000006650: 0B225B91
	v_mul_f32_e32 v146, v146, v46                              // 000000006654: 0B245D92
	v_mul_f32_e32 v147, v147, v47                              // 000000006658: 0B265F93
	buffer_load_dwordx4 a[40:43], v38, s[12:15], 0 offen       // 00000000665C: E05C1000 80832826
	v_mul_f32_e64 v44, -v148, s6                               // 000000006664: D105002C 20000D94
	v_mul_f32_e64 v45, -v149, s6                               // 00000000666C: D105002D 20000D95
	v_mul_f32_e64 v46, -v150, s6                               // 000000006674: D105002E 20000D96
	v_mul_f32_e64 v47, -v151, s6                               // 00000000667C: D105002F 20000D97
	v_exp_f32_e32 v44, v44                                     // 000000006684: 7E58412C
	v_exp_f32_e32 v45, v45                                     // 000000006688: 7E5A412D
	v_exp_f32_e32 v46, v46                                     // 00000000668C: 7E5C412E
	v_exp_f32_e32 v47, v47                                     // 000000006690: 7E5E412F
	buffer_load_dwordx4 a[44:47], v39, s[12:15], 0 offen       // 000000006694: E05C1000 80832C27
	s_add_u32 s12, s78, s12                                    // 00000000669C: 800C0C4E
	s_addc_u32 s13, 0, s13                                     // 0000000066A0: 820D0D80
	v_add_f32_e64 v44, v44, 1.0                                // 0000000066A4: D101002C 0001E52C
	v_add_f32_e64 v45, v45, 1.0                                // 0000000066AC: D101002D 0001E52D
	v_add_f32_e64 v46, v46, 1.0                                // 0000000066B4: D101002E 0001E52E
	v_add_f32_e64 v47, v47, 1.0                                // 0000000066BC: D101002F 0001E52F
	v_rcp_f32_e32 v44, v44                                     // 0000000066C4: 7E58452C
	v_rcp_f32_e32 v45, v45                                     // 0000000066C8: 7E5A452D
	v_rcp_f32_e32 v46, v46                                     // 0000000066CC: 7E5C452E
	v_rcp_f32_e32 v47, v47                                     // 0000000066D0: 7E5E452F
	v_mul_f32_e32 v148, v148, v44                              // 0000000066D4: 0B285994
	v_mul_f32_e32 v149, v149, v45                              // 0000000066D8: 0B2A5B95
	v_mul_f32_e32 v150, v150, v46                              // 0000000066DC: 0B2C5D96
	v_mul_f32_e32 v151, v151, v47                              // 0000000066E0: 0B2E5F97
	s_waitcnt vmcnt(12)                                        // 0000000066E4: BF8C0F7C
	buffer_load_dwordx4 a[48:51], v36, s[12:15], 0 offen       // 0000000066E8: E05C1000 80833024
	v_mul_f32_e64 v44, -v152, s6                               // 0000000066F0: D105002C 20000D98
	v_mul_f32_e64 v45, -v153, s6                               // 0000000066F8: D105002D 20000D99
	v_mul_f32_e64 v46, -v154, s6                               // 000000006700: D105002E 20000D9A
	v_mul_f32_e64 v47, -v155, s6                               // 000000006708: D105002F 20000D9B
	v_exp_f32_e32 v44, v44                                     // 000000006710: 7E58412C
	v_exp_f32_e32 v45, v45                                     // 000000006714: 7E5A412D
	v_exp_f32_e32 v46, v46                                     // 000000006718: 7E5C412E
	v_exp_f32_e32 v47, v47                                     // 00000000671C: 7E5E412F
	buffer_load_dwordx4 a[52:55], v37, s[12:15], 0 offen       // 000000006720: E05C1000 80833425
	v_add_f32_e64 v44, v44, 1.0                                // 000000006728: D101002C 0001E52C
	v_add_f32_e64 v45, v45, 1.0                                // 000000006730: D101002D 0001E52D
	v_add_f32_e64 v46, v46, 1.0                                // 000000006738: D101002E 0001E52E
	v_add_f32_e64 v47, v47, 1.0                                // 000000006740: D101002F 0001E52F
	v_rcp_f32_e32 v44, v44                                     // 000000006748: 7E58452C
	v_rcp_f32_e32 v45, v45                                     // 00000000674C: 7E5A452D
	v_rcp_f32_e32 v46, v46                                     // 000000006750: 7E5C452E
	v_rcp_f32_e32 v47, v47                                     // 000000006754: 7E5E452F
	v_mul_f32_e32 v152, v152, v44                              // 000000006758: 0B305998
	v_mul_f32_e32 v153, v153, v45                              // 00000000675C: 0B325B99
	v_mul_f32_e32 v154, v154, v46                              // 000000006760: 0B345D9A
	v_mul_f32_e32 v155, v155, v47                              // 000000006764: 0B365F9B
	buffer_load_dwordx4 a[56:59], v38, s[12:15], 0 offen       // 000000006768: E05C1000 80833826
	v_mul_f32_e64 v44, -v156, s6                               // 000000006770: D105002C 20000D9C
	v_mul_f32_e64 v45, -v157, s6                               // 000000006778: D105002D 20000D9D
	v_mul_f32_e64 v46, -v158, s6                               // 000000006780: D105002E 20000D9E
	v_mul_f32_e64 v47, -v159, s6                               // 000000006788: D105002F 20000D9F
	v_exp_f32_e32 v44, v44                                     // 000000006790: 7E58412C
	v_exp_f32_e32 v45, v45                                     // 000000006794: 7E5A412D
	v_exp_f32_e32 v46, v46                                     // 000000006798: 7E5C412E
	v_exp_f32_e32 v47, v47                                     // 00000000679C: 7E5E412F
	buffer_load_dwordx4 a[60:63], v39, s[12:15], 0 offen       // 0000000067A0: E05C1000 80833C27
	v_add_f32_e64 v44, v44, 1.0                                // 0000000067A8: D101002C 0001E52C
	v_add_f32_e64 v45, v45, 1.0                                // 0000000067B0: D101002D 0001E52D
	v_add_f32_e64 v46, v46, 1.0                                // 0000000067B8: D101002E 0001E52E
	v_add_f32_e64 v47, v47, 1.0                                // 0000000067C0: D101002F 0001E52F
	v_rcp_f32_e32 v44, v44                                     // 0000000067C8: 7E58452C
	v_rcp_f32_e32 v45, v45                                     // 0000000067CC: 7E5A452D
	v_rcp_f32_e32 v46, v46                                     // 0000000067D0: 7E5C452E
	v_rcp_f32_e32 v47, v47                                     // 0000000067D4: 7E5E452F
	v_mul_f32_e32 v156, v156, v44                              // 0000000067D8: 0B38599C
	v_mul_f32_e32 v157, v157, v45                              // 0000000067DC: 0B3A5B9D
	v_mul_f32_e32 v158, v158, v46                              // 0000000067E0: 0B3C5D9E
	v_mul_f32_e32 v159, v159, v47                              // 0000000067E4: 0B3E5F9F
	v_mul_f32_dpp v128, v16, v128 row_newbcast:0 row_mask:0xf bank_mask:0xf// 0000000067E8: 0B0100FA FF015010
	v_mul_f32_dpp v129, v16, v129 row_newbcast:1 row_mask:0xf bank_mask:0xf// 0000000067F0: 0B0302FA FF015110
	v_mul_f32_dpp v130, v16, v130 row_newbcast:2 row_mask:0xf bank_mask:0xf// 0000000067F8: 0B0504FA FF015210
	v_mul_f32_dpp v131, v16, v131 row_newbcast:3 row_mask:0xf bank_mask:0xf// 000000006800: 0B0706FA FF015310
	v_mul_f32_dpp v132, v16, v132 row_newbcast:0 row_mask:0xf bank_mask:0xf// 000000006808: 0B0908FA FF015010
	v_mul_f32_dpp v133, v16, v133 row_newbcast:1 row_mask:0xf bank_mask:0xf// 000000006810: 0B0B0AFA FF015110
	v_mul_f32_dpp v134, v16, v134 row_newbcast:2 row_mask:0xf bank_mask:0xf// 000000006818: 0B0D0CFA FF015210
	v_mul_f32_dpp v135, v16, v135 row_newbcast:3 row_mask:0xf bank_mask:0xf// 000000006820: 0B0F0EFA FF015310
	v_mul_f32_dpp v136, v16, v136 row_newbcast:4 row_mask:0xf bank_mask:0xf// 000000006828: 0B1110FA FF015410
	v_mul_f32_dpp v137, v16, v137 row_newbcast:5 row_mask:0xf bank_mask:0xf// 000000006830: 0B1312FA FF015510
	v_mul_f32_dpp v138, v16, v138 row_newbcast:6 row_mask:0xf bank_mask:0xf// 000000006838: 0B1514FA FF015610
	v_mul_f32_dpp v139, v16, v139 row_newbcast:7 row_mask:0xf bank_mask:0xf// 000000006840: 0B1716FA FF015710
	v_mul_f32_dpp v140, v16, v140 row_newbcast:4 row_mask:0xf bank_mask:0xf// 000000006848: 0B1918FA FF015410
	v_mul_f32_dpp v141, v16, v141 row_newbcast:5 row_mask:0xf bank_mask:0xf// 000000006850: 0B1B1AFA FF015510
	v_mul_f32_dpp v142, v16, v142 row_newbcast:6 row_mask:0xf bank_mask:0xf// 000000006858: 0B1D1CFA FF015610
	v_mul_f32_dpp v143, v16, v143 row_newbcast:7 row_mask:0xf bank_mask:0xf// 000000006860: 0B1F1EFA FF015710
	v_mul_f32_dpp v144, v16, v144 row_newbcast:8 row_mask:0xf bank_mask:0xf// 000000006868: 0B2120FA FF015810
	v_mul_f32_dpp v145, v16, v145 row_newbcast:9 row_mask:0xf bank_mask:0xf// 000000006870: 0B2322FA FF015910
	v_mul_f32_dpp v146, v16, v146 row_newbcast:10 row_mask:0xf bank_mask:0xf// 000000006878: 0B2524FA FF015A10
	v_mul_f32_dpp v147, v16, v147 row_newbcast:11 row_mask:0xf bank_mask:0xf// 000000006880: 0B2726FA FF015B10
	v_mul_f32_dpp v148, v16, v148 row_newbcast:8 row_mask:0xf bank_mask:0xf// 000000006888: 0B2928FA FF015810
	v_mul_f32_dpp v149, v16, v149 row_newbcast:9 row_mask:0xf bank_mask:0xf// 000000006890: 0B2B2AFA FF015910
	v_mul_f32_dpp v150, v16, v150 row_newbcast:10 row_mask:0xf bank_mask:0xf// 000000006898: 0B2D2CFA FF015A10
	v_mul_f32_dpp v151, v16, v151 row_newbcast:11 row_mask:0xf bank_mask:0xf// 0000000068A0: 0B2F2EFA FF015B10
	v_mul_f32_dpp v152, v16, v152 row_newbcast:12 row_mask:0xf bank_mask:0xf// 0000000068A8: 0B3130FA FF015C10
	v_mul_f32_dpp v153, v16, v153 row_newbcast:13 row_mask:0xf bank_mask:0xf// 0000000068B0: 0B3332FA FF015D10
	v_mul_f32_dpp v154, v16, v154 row_newbcast:14 row_mask:0xf bank_mask:0xf// 0000000068B8: 0B3534FA FF015E10
	v_mul_f32_dpp v155, v16, v155 row_newbcast:15 row_mask:0xf bank_mask:0xf// 0000000068C0: 0B3736FA FF015F10
	v_mul_f32_dpp v156, v16, v156 row_newbcast:12 row_mask:0xf bank_mask:0xf// 0000000068C8: 0B3938FA FF015C10
	v_mul_f32_dpp v157, v16, v157 row_newbcast:13 row_mask:0xf bank_mask:0xf// 0000000068D0: 0B3B3AFA FF015D10
	v_mul_f32_dpp v158, v16, v158 row_newbcast:14 row_mask:0xf bank_mask:0xf// 0000000068D8: 0B3D3CFA FF015E10
	v_mul_f32_dpp v159, v16, v159 row_newbcast:15 row_mask:0xf bank_mask:0xf// 0000000068E0: 0B3F3EFA FF015F10
	buffer_load_dword v11, v5, s[16:19], 0 offen               // 0000000068E8: E0501000 80040B05
	v_mov_b32_e32 v20, 0x358637bd                              // 0000000068F0: 7E2802FF 358637BD
	v_mov_b32_e32 v21, 0x358637bd                              // 0000000068F8: 7E2A02FF 358637BD
	v_max3_f32 v20, |v128|, |v129|, v20                        // 000000006900: D1D30314 04530380
	v_max3_f32 v20, |v130|, |v131|, v20                        // 000000006908: D1D30314 04530782
	v_max3_f32 v21, |v132|, |v133|, v21                        // 000000006910: D1D30315 04570B84
	v_max3_f32 v21, |v134|, |v135|, v21                        // 000000006918: D1D30315 04570F86
	v_max3_f32 v20, |v136|, |v137|, v20                        // 000000006920: D1D30314 04531388
	v_max3_f32 v20, |v138|, |v139|, v20                        // 000000006928: D1D30314 0453178A
	v_max3_f32 v21, |v140|, |v141|, v21                        // 000000006930: D1D30315 04571B8C
	v_max3_f32 v21, |v142|, |v143|, v21                        // 000000006938: D1D30315 04571F8E
	v_max3_f32 v20, |v144|, |v145|, v20                        // 000000006940: D1D30314 04532390
	v_max3_f32 v20, |v146|, |v147|, v20                        // 000000006948: D1D30314 04532792
	v_max3_f32 v21, |v148|, |v149|, v21                        // 000000006950: D1D30315 04572B94
	v_max3_f32 v21, |v150|, |v151|, v21                        // 000000006958: D1D30315 04572F96
	v_max3_f32 v20, |v152|, |v153|, v20                        // 000000006960: D1D30314 04533398
	v_max3_f32 v20, |v154|, |v155|, v20                        // 000000006968: D1D30314 0453379A
	v_max3_f32 v21, |v156|, |v157|, v21                        // 000000006970: D1D30315 04573B9C
	v_max3_f32 v21, |v158|, |v159|, v21                        // 000000006978: D1D30315 04573F9E
	v_lshlrev_b32_e32 v44, 3, v0                               // 000000006980: 24580083
	s_mul_i32 s60, 0x200, s7                                   // 000000006984: 923C07FF 00000200
	v_add_u32_e32 v44, s60, v44                                // 00000000698C: 6858583C
	ds_write_b64 v44, v[20:21] offset:16640                    // 000000006990: D89A4100 0000142C
	s_waitcnt lgkmcnt(0)                                       // 000000006998: BF8CC07F
	s_barrier                                                  // 00000000699C: BF8A0000
	v_and_b32_e32 v44, 15, v0                                  // 0000000069A0: 2658008F
	v_lshlrev_b32_e32 v44, 3, v44                              // 0000000069A4: 24585883
	ds_read_b64 v[96:97], v44 offset:16640                     // 0000000069A8: D8EC4100 6000002C
	ds_read_b64 v[98:99], v44 offset:16768                     // 0000000069B0: D8EC4180 6200002C
	ds_read_b64 v[100:101], v44 offset:16896                   // 0000000069B8: D8EC4200 6400002C
	ds_read_b64 v[102:103], v44 offset:17024                   // 0000000069C0: D8EC4280 6600002C
	ds_read_b64 v[104:105], v44 offset:17152                   // 0000000069C8: D8EC4300 6800002C
	ds_read_b64 v[106:107], v44 offset:17280                   // 0000000069D0: D8EC4380 6A00002C
	ds_read_b64 v[108:109], v44 offset:17408                   // 0000000069D8: D8EC4400 6C00002C
	ds_read_b64 v[110:111], v44 offset:17536                   // 0000000069E0: D8EC4480 6E00002C
	ds_read_b64 v[112:113], v44 offset:17664                   // 0000000069E8: D8EC4500 7000002C
	ds_read_b64 v[114:115], v44 offset:17792                   // 0000000069F0: D8EC4580 7200002C
	ds_read_b64 v[116:117], v44 offset:17920                   // 0000000069F8: D8EC4600 7400002C
	ds_read_b64 v[118:119], v44 offset:18048                   // 000000006A00: D8EC4680 7600002C
	ds_read_b64 v[120:121], v44 offset:18176                   // 000000006A08: D8EC4700 7800002C
	ds_read_b64 v[122:123], v44 offset:18304                   // 000000006A10: D8EC4780 7A00002C
	ds_read_b64 v[124:125], v44 offset:18432                   // 000000006A18: D8EC4800 7C00002C
	ds_read_b64 v[126:127], v44 offset:18560                   // 000000006A20: D8EC4880 7E00002C
	s_waitcnt lgkmcnt(0)                                       // 000000006A28: BF8CC07F
	v_max3_f32 v20, |v96|, |v98|, v20                          // 000000006A2C: D1D30314 0452C560
	v_max3_f32 v21, |v97|, |v99|, v21                          // 000000006A34: D1D30315 0456C761
	v_max3_f32 v20, |v100|, |v102|, v20                        // 000000006A3C: D1D30314 0452CD64
	v_max3_f32 v21, |v101|, |v103|, v21                        // 000000006A44: D1D30315 0456CF65
	v_max3_f32 v20, |v104|, |v106|, v20                        // 000000006A4C: D1D30314 0452D568
	v_max3_f32 v21, |v105|, |v107|, v21                        // 000000006A54: D1D30315 0456D769
	v_max3_f32 v20, |v108|, |v110|, v20                        // 000000006A5C: D1D30314 0452DD6C
	v_max3_f32 v21, |v109|, |v111|, v21                        // 000000006A64: D1D30315 0456DF6D
	v_max3_f32 v20, |v112|, |v114|, v20                        // 000000006A6C: D1D30314 0452E570
	v_max3_f32 v21, |v113|, |v115|, v21                        // 000000006A74: D1D30315 0456E771
	v_max3_f32 v20, |v116|, |v118|, v20                        // 000000006A7C: D1D30314 0452ED74
	v_max3_f32 v21, |v117|, |v119|, v21                        // 000000006A84: D1D30315 0456EF75
	v_max3_f32 v20, |v120|, |v122|, v20                        // 000000006A8C: D1D30314 0452F578
	v_max3_f32 v21, |v121|, |v123|, v21                        // 000000006A94: D1D30315 0456F779
	v_max3_f32 v20, |v124|, |v126|, v20                        // 000000006A9C: D1D30314 0452FD7C
	v_max3_f32 v21, |v125|, |v127|, v21                        // 000000006AA4: D1D30315 0456FF7D
	v_rcp_f32_e32 v20, v20                                     // 000000006AAC: 7E284514
	v_rcp_f32_e32 v21, v21                                     // 000000006AB0: 7E2A4515
	v_mul_f32_e32 v20, 0x42fe0000, v20                         // 000000006AB4: 0A2828FF 42FE0000
	v_mul_f32_e32 v21, 0x42fe0000, v21                         // 000000006ABC: 0A2A2AFF 42FE0000
	v_mul_f32_e32 v128, v20, v128                              // 000000006AC4: 0B010114
	v_mul_f32_e32 v129, v20, v129                              // 000000006AC8: 0B030314
	v_mul_f32_e32 v130, v20, v130                              // 000000006ACC: 0B050514
	v_mul_f32_e32 v131, v20, v131                              // 000000006AD0: 0B070714
	v_cvt_i32_f32_e32 v128, v128                               // 000000006AD4: 7F001180
	v_cvt_i32_f32_e32 v129, v129                               // 000000006AD8: 7F021181
	v_cvt_i32_f32_e32 v130, v130                               // 000000006ADC: 7F041182
	v_cvt_i32_f32_e32 v131, v131                               // 000000006AE0: 7F061183
	v_perm_b32 v128, v129, v128, s53                           // 000000006AE4: D1ED0080 00D70181
	v_perm_b32 v128, v130, v128, s54                           // 000000006AEC: D1ED0080 00DB0182
	v_perm_b32 v128, v131, v128, s55                           // 000000006AF4: D1ED0080 00DF0183
	v_mul_f32_e32 v132, v21, v132                              // 000000006AFC: 0B090915
	v_mul_f32_e32 v133, v21, v133                              // 000000006B00: 0B0B0B15
	v_mul_f32_e32 v134, v21, v134                              // 000000006B04: 0B0D0D15
	v_mul_f32_e32 v135, v21, v135                              // 000000006B08: 0B0F0F15
	v_cvt_i32_f32_e32 v132, v132                               // 000000006B0C: 7F081184
	v_cvt_i32_f32_e32 v133, v133                               // 000000006B10: 7F0A1185
	v_cvt_i32_f32_e32 v134, v134                               // 000000006B14: 7F0C1186
	v_cvt_i32_f32_e32 v135, v135                               // 000000006B18: 7F0E1187
	v_perm_b32 v129, v133, v132, s53                           // 000000006B1C: D1ED0081 00D70985
	v_perm_b32 v129, v134, v129, s54                           // 000000006B24: D1ED0081 00DB0386
	v_perm_b32 v129, v135, v129, s55                           // 000000006B2C: D1ED0081 00DF0387
	v_mul_f32_e32 v136, v20, v136                              // 000000006B34: 0B111114
	v_mul_f32_e32 v137, v20, v137                              // 000000006B38: 0B131314
	v_mul_f32_e32 v138, v20, v138                              // 000000006B3C: 0B151514
	v_mul_f32_e32 v139, v20, v139                              // 000000006B40: 0B171714
	v_cvt_i32_f32_e32 v136, v136                               // 000000006B44: 7F101188
	v_cvt_i32_f32_e32 v137, v137                               // 000000006B48: 7F121189
	v_cvt_i32_f32_e32 v138, v138                               // 000000006B4C: 7F14118A
	v_cvt_i32_f32_e32 v139, v139                               // 000000006B50: 7F16118B
	v_perm_b32 v130, v137, v136, s53                           // 000000006B54: D1ED0082 00D71189
	v_perm_b32 v130, v138, v130, s54                           // 000000006B5C: D1ED0082 00DB058A
	v_perm_b32 v130, v139, v130, s55                           // 000000006B64: D1ED0082 00DF058B
	v_mul_f32_e32 v140, v21, v140                              // 000000006B6C: 0B191915
	v_mul_f32_e32 v141, v21, v141                              // 000000006B70: 0B1B1B15
	v_mul_f32_e32 v142, v21, v142                              // 000000006B74: 0B1D1D15
	v_mul_f32_e32 v143, v21, v143                              // 000000006B78: 0B1F1F15
	v_cvt_i32_f32_e32 v140, v140                               // 000000006B7C: 7F18118C
	v_cvt_i32_f32_e32 v141, v141                               // 000000006B80: 7F1A118D
	v_cvt_i32_f32_e32 v142, v142                               // 000000006B84: 7F1C118E
	v_cvt_i32_f32_e32 v143, v143                               // 000000006B88: 7F1E118F
	v_perm_b32 v131, v141, v140, s53                           // 000000006B8C: D1ED0083 00D7198D
	v_perm_b32 v131, v142, v131, s54                           // 000000006B94: D1ED0083 00DB078E
	v_perm_b32 v131, v143, v131, s55                           // 000000006B9C: D1ED0083 00DF078F
	v_mul_f32_e32 v144, v20, v144                              // 000000006BA4: 0B212114
	v_mul_f32_e32 v145, v20, v145                              // 000000006BA8: 0B232314
	v_mul_f32_e32 v146, v20, v146                              // 000000006BAC: 0B252514
	v_mul_f32_e32 v147, v20, v147                              // 000000006BB0: 0B272714
	v_cvt_i32_f32_e32 v144, v144                               // 000000006BB4: 7F201190
	v_cvt_i32_f32_e32 v145, v145                               // 000000006BB8: 7F221191
	v_cvt_i32_f32_e32 v146, v146                               // 000000006BBC: 7F241192
	v_cvt_i32_f32_e32 v147, v147                               // 000000006BC0: 7F261193
	v_perm_b32 v132, v145, v144, s53                           // 000000006BC4: D1ED0084 00D72191
	v_perm_b32 v132, v146, v132, s54                           // 000000006BCC: D1ED0084 00DB0992
	v_perm_b32 v132, v147, v132, s55                           // 000000006BD4: D1ED0084 00DF0993
	v_mul_f32_e32 v148, v21, v148                              // 000000006BDC: 0B292915
	v_mul_f32_e32 v149, v21, v149                              // 000000006BE0: 0B2B2B15
	v_mul_f32_e32 v150, v21, v150                              // 000000006BE4: 0B2D2D15
	v_mul_f32_e32 v151, v21, v151                              // 000000006BE8: 0B2F2F15
	v_cvt_i32_f32_e32 v148, v148                               // 000000006BEC: 7F281194
	v_cvt_i32_f32_e32 v149, v149                               // 000000006BF0: 7F2A1195
	v_cvt_i32_f32_e32 v150, v150                               // 000000006BF4: 7F2C1196
	v_cvt_i32_f32_e32 v151, v151                               // 000000006BF8: 7F2E1197
	v_perm_b32 v133, v149, v148, s53                           // 000000006BFC: D1ED0085 00D72995
	v_perm_b32 v133, v150, v133, s54                           // 000000006C04: D1ED0085 00DB0B96
	v_perm_b32 v133, v151, v133, s55                           // 000000006C0C: D1ED0085 00DF0B97
	v_mul_f32_e32 v152, v20, v152                              // 000000006C14: 0B313114
	v_mul_f32_e32 v153, v20, v153                              // 000000006C18: 0B333314
	v_mul_f32_e32 v154, v20, v154                              // 000000006C1C: 0B353514
	v_mul_f32_e32 v155, v20, v155                              // 000000006C20: 0B373714
	v_cvt_i32_f32_e32 v152, v152                               // 000000006C24: 7F301198
	v_cvt_i32_f32_e32 v153, v153                               // 000000006C28: 7F321199
	v_cvt_i32_f32_e32 v154, v154                               // 000000006C2C: 7F34119A
	v_cvt_i32_f32_e32 v155, v155                               // 000000006C30: 7F36119B
	v_perm_b32 v134, v153, v152, s53                           // 000000006C34: D1ED0086 00D73199
	v_perm_b32 v134, v154, v134, s54                           // 000000006C3C: D1ED0086 00DB0D9A
	v_perm_b32 v134, v155, v134, s55                           // 000000006C44: D1ED0086 00DF0D9B
	v_mul_f32_e32 v156, v21, v156                              // 000000006C4C: 0B393915
	v_mul_f32_e32 v157, v21, v157                              // 000000006C50: 0B3B3B15
	v_mul_f32_e32 v158, v21, v158                              // 000000006C54: 0B3D3D15
	v_mul_f32_e32 v159, v21, v159                              // 000000006C58: 0B3F3F15
	v_cvt_i32_f32_e32 v156, v156                               // 000000006C5C: 7F38119C
	v_cvt_i32_f32_e32 v157, v157                               // 000000006C60: 7F3A119D
	v_cvt_i32_f32_e32 v158, v158                               // 000000006C64: 7F3C119E
	v_cvt_i32_f32_e32 v159, v159                               // 000000006C68: 7F3E119F
	v_perm_b32 v135, v157, v156, s53                           // 000000006C6C: D1ED0087 00D7399D
	v_perm_b32 v135, v158, v135, s54                           // 000000006C74: D1ED0087 00DB0F9E
	v_perm_b32 v135, v159, v135, s55                           // 000000006C7C: D1ED0087 00DF0F9F
	v_rcp_f32_e32 v22, v20                                     // 000000006C84: 7E2C4514
	v_rcp_f32_e32 v23, v21                                     // 000000006C88: 7E2E4515
	v_lshrrev_b32_e32 v44, 5, v0                               // 000000006C8C: 20580085
	v_lshlrev_b32_e32 v45, 5, v44                              // 000000006C90: 245A5885
	v_and_b32_e32 v44, 31, v0                                  // 000000006C94: 2658009F
	v_lshrrev_b32_e32 v46, 4, v44                              // 000000006C98: 205C5884
	v_add_u32_e32 v45, v46, v45                                // 000000006C9C: 685A5B2E
	v_and_b32_e32 v44, 15, v0                                  // 000000006CA0: 2658008F
	v_lshlrev_b32_e32 v44, 1, v44                              // 000000006CA4: 24585881
	v_add_u32_e32 v45, v44, v45                                // 000000006CA8: 685A5B2C
	v_lshlrev_b32_e32 v44, 2, v45                              // 000000006CAC: 24585A82
	s_mul_i32 s60, 0x100, s7                                   // 000000006CB0: 923C07FF 00000100
	v_add_u32_e64 v44, v44, s60                                // 000000006CB8: D134002C 0000792C
	ds_write_b32 v44, v128 offset:18688                        // 000000006CC0: D81A4900 0000802C
	ds_write_b32 v44, v129 offset:22784                        // 000000006CC8: D81A5900 0000812C
	ds_write_b32 v44, v130 offset:19712                        // 000000006CD0: D81A4D00 0000822C
	ds_write_b32 v44, v131 offset:23808                        // 000000006CD8: D81A5D00 0000832C
	ds_write_b32 v44, v132 offset:20736                        // 000000006CE0: D81A5100 0000842C
	ds_write_b32 v44, v133 offset:24832                        // 000000006CE8: D81A6100 0000852C
	ds_write_b32 v44, v134 offset:21760                        // 000000006CF0: D81A5500 0000862C
	ds_write_b32 v44, v135 offset:25856                        // 000000006CF8: D81A6500 0000872C
	s_waitcnt lgkmcnt(0)                                       // 000000006D00: BF8CC07F
	s_barrier                                                  // 000000006D04: BF8A0000
	v_lshrrev_b32_e32 v44, 4, v0                               // 000000006D08: 20580084
	v_lshlrev_b32_e32 v45, 6, v44                              // 000000006D0C: 245A5886
	v_and_b32_e32 v44, 15, v0                                  // 000000006D10: 2658008F
	v_lshlrev_b32_e32 v44, 1, v44                              // 000000006D14: 24585881
	v_add_u32_e32 v45, v44, v45                                // 000000006D18: 685A5B2C
	v_lshlrev_b32_e32 v44, 2, v45                              // 000000006D1C: 24585A82
	ds_read_b64 v[128:129], v44 offset:18688                   // 000000006D20: D8EC4900 8000002C
	ds_read_b64 v[130:131], v44 offset:18816                   // 000000006D28: D8EC4980 8200002C
	ds_read_b64 v[132:133], v44 offset:19712                   // 000000006D30: D8EC4D00 8400002C
	ds_read_b64 v[134:135], v44 offset:19840                   // 000000006D38: D8EC4D80 8600002C
	ds_read_b64 v[136:137], v44 offset:20736                   // 000000006D40: D8EC5100 8800002C
	ds_read_b64 v[138:139], v44 offset:20864                   // 000000006D48: D8EC5180 8A00002C
	ds_read_b64 v[140:141], v44 offset:21760                   // 000000006D50: D8EC5500 8C00002C
	ds_read_b64 v[142:143], v44 offset:21888                   // 000000006D58: D8EC5580 8E00002C
	ds_read_b64 v[144:145], v44 offset:22784                   // 000000006D60: D8EC5900 9000002C
	ds_read_b64 v[146:147], v44 offset:22912                   // 000000006D68: D8EC5980 9200002C
	ds_read_b64 v[148:149], v44 offset:23808                   // 000000006D70: D8EC5D00 9400002C
	ds_read_b64 v[150:151], v44 offset:23936                   // 000000006D78: D8EC5D80 9600002C
	ds_read_b64 v[152:153], v44 offset:24832                   // 000000006D80: D8EC6100 9800002C
	ds_read_b64 v[154:155], v44 offset:24960                   // 000000006D88: D8EC6180 9A00002C
	ds_read_b64 v[156:157], v44 offset:25856                   // 000000006D90: D8EC6500 9C00002C
	ds_read_b64 v[158:159], v44 offset:25984                   // 000000006D98: D8EC6580 9E00002C
	s_add_u32 s12, s56, s12                                    // 000000006DA0: 800C0C38
	s_addc_u32 s13, 0, s13                                     // 000000006DA4: 820D0D80
	s_add_u32 s16, s79, s16                                    // 000000006DA8: 8010104F
	s_addc_u32 s17, 0, s17                                     // 000000006DAC: 82111180
	s_mov_b32 s80, 0                                           // 000000006DB0: BED00080
	s_waitcnt vmcnt(0) expcnt(0) lgkmcnt(0)                    // 000000006DB4: BF8C0000

0000000000006db8 <label_0FEE>:
	s_waitcnt vmcnt(29)                                        // 000000006DB8: BF8C4F7D
	s_barrier                                                  // 000000006DBC: BF8A0000
	v_mfma_i32_16x16x32_i8 v[160:163], a[0:1], v[128:129], 0   // 000000006DC0: D3D700A0 0A030100
	buffer_load_dwordx4 a[64:67], v36, s[12:15], 0 offen       // 000000006DC8: E05C1000 80834024
	v_mfma_i32_16x16x32_i8 v[160:163], a[2:3], v[130:131], v[160:163]// 000000006DD0: D3D700A0 0E830502
	v_mfma_i32_16x16x32_i8 v[164:167], a[0:1], v[144:145], 0   // 000000006DD8: D3D700A4 0A032100
	v_mfma_i32_16x16x32_i8 v[164:167], a[2:3], v[146:147], v[164:167]// 000000006DE0: D3D700A4 0E932502
	v_mfma_i32_16x16x32_i8 v[168:171], a[4:5], v[128:129], 0   // 000000006DE8: D3D700A8 0A030104
	buffer_load_dwordx4 a[68:71], v37, s[12:15], 0 offen       // 000000006DF0: E05C1000 80834425
	v_mfma_i32_16x16x32_i8 v[168:171], a[6:7], v[130:131], v[168:171]// 000000006DF8: D3D700A8 0EA30506
	v_mfma_i32_16x16x32_i8 v[172:175], a[4:5], v[144:145], 0   // 000000006E00: D3D700AC 0A032104
	v_mfma_i32_16x16x32_i8 v[172:175], a[6:7], v[146:147], v[172:175]// 000000006E08: D3D700AC 0EB32506
	v_mfma_i32_16x16x32_i8 v[176:179], a[8:9], v[128:129], 0   // 000000006E10: D3D700B0 0A030108
	buffer_load_dwordx4 a[72:75], v38, s[12:15], 0 offen       // 000000006E18: E05C1000 80834826
	v_mfma_i32_16x16x32_i8 v[176:179], a[10:11], v[130:131], v[176:179]// 000000006E20: D3D700B0 0EC3050A
	v_mfma_i32_16x16x32_i8 v[180:183], a[8:9], v[144:145], 0   // 000000006E28: D3D700B4 0A032108
	v_mfma_i32_16x16x32_i8 v[180:183], a[10:11], v[146:147], v[180:183]// 000000006E30: D3D700B4 0ED3250A
	v_mfma_i32_16x16x32_i8 v[184:187], a[12:13], v[128:129], 0 // 000000006E38: D3D700B8 0A03010C
	buffer_load_dwordx4 a[76:79], v39, s[12:15], 0 offen       // 000000006E40: E05C1000 80834C27
	s_add_u32 s12, s78, s12                                    // 000000006E48: 800C0C4E
	s_addc_u32 s13, 0, s13                                     // 000000006E4C: 820D0D80
	v_mfma_i32_16x16x32_i8 v[184:187], a[14:15], v[130:131], v[184:187]// 000000006E50: D3D700B8 0EE3050E
	v_mfma_i32_16x16x32_i8 v[188:191], a[12:13], v[144:145], 0 // 000000006E58: D3D700BC 0A03210C
	v_mfma_i32_16x16x32_i8 v[188:191], a[14:15], v[146:147], v[188:191]// 000000006E60: D3D700BC 0EF3250E
	s_waitcnt vmcnt(29)                                        // 000000006E68: BF8C4F7D
	v_mfma_i32_16x16x32_i8 v[160:163], a[16:17], v[132:133], v[160:163]// 000000006E6C: D3D700A0 0E830910
	buffer_load_dwordx4 a[80:83], v36, s[12:15], 0 offen       // 000000006E74: E05C1000 80835024
	v_mfma_i32_16x16x32_i8 v[160:163], a[18:19], v[134:135], v[160:163]// 000000006E7C: D3D700A0 0E830D12
	v_mfma_i32_16x16x32_i8 v[164:167], a[16:17], v[148:149], v[164:167]// 000000006E84: D3D700A4 0E932910
	v_mfma_i32_16x16x32_i8 v[164:167], a[18:19], v[150:151], v[164:167]// 000000006E8C: D3D700A4 0E932D12
	v_mfma_i32_16x16x32_i8 v[168:171], a[20:21], v[132:133], v[168:171]// 000000006E94: D3D700A8 0EA30914
	buffer_load_dwordx4 a[84:87], v37, s[12:15], 0 offen       // 000000006E9C: E05C1000 80835425
	v_mfma_i32_16x16x32_i8 v[168:171], a[22:23], v[134:135], v[168:171]// 000000006EA4: D3D700A8 0EA30D16
	v_mfma_i32_16x16x32_i8 v[172:175], a[20:21], v[148:149], v[172:175]// 000000006EAC: D3D700AC 0EB32914
	v_mfma_i32_16x16x32_i8 v[172:175], a[22:23], v[150:151], v[172:175]// 000000006EB4: D3D700AC 0EB32D16
	v_mfma_i32_16x16x32_i8 v[176:179], a[24:25], v[132:133], v[176:179]// 000000006EBC: D3D700B0 0EC30918
	buffer_load_dwordx4 a[88:91], v38, s[12:15], 0 offen       // 000000006EC4: E05C1000 80835826
	v_mfma_i32_16x16x32_i8 v[176:179], a[26:27], v[134:135], v[176:179]// 000000006ECC: D3D700B0 0EC30D1A
	v_mfma_i32_16x16x32_i8 v[180:183], a[24:25], v[148:149], v[180:183]// 000000006ED4: D3D700B4 0ED32918
	v_mfma_i32_16x16x32_i8 v[180:183], a[26:27], v[150:151], v[180:183]// 000000006EDC: D3D700B4 0ED32D1A
	v_mfma_i32_16x16x32_i8 v[184:187], a[28:29], v[132:133], v[184:187]// 000000006EE4: D3D700B8 0EE3091C
	buffer_load_dwordx4 a[92:95], v39, s[12:15], 0 offen       // 000000006EEC: E05C1000 80835C27
	s_add_u32 s12, s78, s12                                    // 000000006EF4: 800C0C4E
	s_addc_u32 s13, 0, s13                                     // 000000006EF8: 820D0D80
	v_mfma_i32_16x16x32_i8 v[184:187], a[30:31], v[134:135], v[184:187]// 000000006EFC: D3D700B8 0EE30D1E
	v_mfma_i32_16x16x32_i8 v[188:191], a[28:29], v[148:149], v[188:191]// 000000006F04: D3D700BC 0EF3291C
	v_mfma_i32_16x16x32_i8 v[188:191], a[30:31], v[150:151], v[188:191]// 000000006F0C: D3D700BC 0EF32D1E
	s_waitcnt vmcnt(29)                                        // 000000006F14: BF8C4F7D
	v_mfma_i32_16x16x32_i8 v[160:163], a[32:33], v[136:137], v[160:163]// 000000006F18: D3D700A0 0E831120
	buffer_load_dwordx4 a[96:99], v36, s[12:15], 0 offen       // 000000006F20: E05C1000 80836024
	v_mfma_i32_16x16x32_i8 v[160:163], a[34:35], v[138:139], v[160:163]// 000000006F28: D3D700A0 0E831522
	v_mfma_i32_16x16x32_i8 v[164:167], a[32:33], v[152:153], v[164:167]// 000000006F30: D3D700A4 0E933120
	v_mfma_i32_16x16x32_i8 v[164:167], a[34:35], v[154:155], v[164:167]// 000000006F38: D3D700A4 0E933522
	v_mfma_i32_16x16x32_i8 v[168:171], a[36:37], v[136:137], v[168:171]// 000000006F40: D3D700A8 0EA31124
	buffer_load_dwordx4 a[100:103], v37, s[12:15], 0 offen     // 000000006F48: E05C1000 80836425
	v_mfma_i32_16x16x32_i8 v[168:171], a[38:39], v[138:139], v[168:171]// 000000006F50: D3D700A8 0EA31526
	v_mfma_i32_16x16x32_i8 v[172:175], a[36:37], v[152:153], v[172:175]// 000000006F58: D3D700AC 0EB33124
	v_mfma_i32_16x16x32_i8 v[172:175], a[38:39], v[154:155], v[172:175]// 000000006F60: D3D700AC 0EB33526
	v_mfma_i32_16x16x32_i8 v[176:179], a[40:41], v[136:137], v[176:179]// 000000006F68: D3D700B0 0EC31128
	buffer_load_dwordx4 a[104:107], v38, s[12:15], 0 offen     // 000000006F70: E05C1000 80836826
	v_mfma_i32_16x16x32_i8 v[176:179], a[42:43], v[138:139], v[176:179]// 000000006F78: D3D700B0 0EC3152A
	v_mfma_i32_16x16x32_i8 v[180:183], a[40:41], v[152:153], v[180:183]// 000000006F80: D3D700B4 0ED33128
	v_mfma_i32_16x16x32_i8 v[180:183], a[42:43], v[154:155], v[180:183]// 000000006F88: D3D700B4 0ED3352A
	v_mfma_i32_16x16x32_i8 v[184:187], a[44:45], v[136:137], v[184:187]// 000000006F90: D3D700B8 0EE3112C
	buffer_load_dwordx4 a[108:111], v39, s[12:15], 0 offen     // 000000006F98: E05C1000 80836C27
	s_add_u32 s12, s78, s12                                    // 000000006FA0: 800C0C4E
	s_addc_u32 s13, 0, s13                                     // 000000006FA4: 820D0D80
	v_mfma_i32_16x16x32_i8 v[184:187], a[46:47], v[138:139], v[184:187]// 000000006FA8: D3D700B8 0EE3152E
	v_mfma_i32_16x16x32_i8 v[188:191], a[44:45], v[152:153], v[188:191]// 000000006FB0: D3D700BC 0EF3312C
	v_mfma_i32_16x16x32_i8 v[188:191], a[46:47], v[154:155], v[188:191]// 000000006FB8: D3D700BC 0EF3352E
	s_waitcnt vmcnt(28)                                        // 000000006FC0: BF8C4F7C
	v_mfma_i32_16x16x32_i8 v[160:163], a[48:49], v[140:141], v[160:163]// 000000006FC4: D3D700A0 0E831930
	buffer_load_dwordx4 a[112:115], v36, s[12:15], 0 offen     // 000000006FCC: E05C1000 80837024
	v_mfma_i32_16x16x32_i8 v[160:163], a[50:51], v[142:143], v[160:163]// 000000006FD4: D3D700A0 0E831D32
	v_mfma_i32_16x16x32_i8 v[164:167], a[48:49], v[156:157], v[164:167]// 000000006FDC: D3D700A4 0E933930
	buffer_load_dword v12, v5, s[16:19], 0 offen               // 000000006FE4: E0501000 80040C05
	v_mfma_i32_16x16x32_i8 v[164:167], a[50:51], v[158:159], v[164:167]// 000000006FEC: D3D700A4 0E933D32
	v_mfma_i32_16x16x32_i8 v[168:171], a[52:53], v[140:141], v[168:171]// 000000006FF4: D3D700A8 0EA31934
	buffer_load_dwordx4 a[116:119], v37, s[12:15], 0 offen     // 000000006FFC: E05C1000 80837425
	v_mfma_i32_16x16x32_i8 v[168:171], a[54:55], v[142:143], v[168:171]// 000000007004: D3D700A8 0EA31D36
	v_mfma_i32_16x16x32_i8 v[172:175], a[52:53], v[156:157], v[172:175]// 00000000700C: D3D700AC 0EB33934
	v_mfma_i32_16x16x32_i8 v[172:175], a[54:55], v[158:159], v[172:175]// 000000007014: D3D700AC 0EB33D36
	v_mfma_i32_16x16x32_i8 v[176:179], a[56:57], v[140:141], v[176:179]// 00000000701C: D3D700B0 0EC31938
	buffer_load_dwordx4 a[120:123], v38, s[12:15], 0 offen     // 000000007024: E05C1000 80837826
	v_mfma_i32_16x16x32_i8 v[176:179], a[58:59], v[142:143], v[176:179]// 00000000702C: D3D700B0 0EC31D3A
	v_mfma_i32_16x16x32_i8 v[180:183], a[56:57], v[156:157], v[180:183]// 000000007034: D3D700B4 0ED33938
	v_mfma_i32_16x16x32_i8 v[180:183], a[58:59], v[158:159], v[180:183]// 00000000703C: D3D700B4 0ED33D3A
	v_mfma_i32_16x16x32_i8 v[184:187], a[60:61], v[140:141], v[184:187]// 000000007044: D3D700B8 0EE3193C
	buffer_load_dwordx4 a[124:127], v39, s[12:15], 0 offen     // 00000000704C: E05C1000 80837C27
	v_mfma_i32_16x16x32_i8 v[184:187], a[62:63], v[142:143], v[184:187]// 000000007054: D3D700B8 0EE31D3E
	v_mfma_i32_16x16x32_i8 v[188:191], a[60:61], v[156:157], v[188:191]// 00000000705C: D3D700BC 0EF3393C
	v_mfma_i32_16x16x32_i8 v[188:191], a[62:63], v[158:159], v[188:191]// 000000007064: D3D700BC 0EF33D3E
	s_add_u32 s60, 0x200, s80                                  // 00000000706C: 803C50FF 00000200
	s_cmp_lt_u32 s60, s81                                      // 000000007074: BF0A513C
	s_cselect_b32 s56, s56, 0                                  // 000000007078: 85388038
	s_cselect_b32 s78, s78, 0                                  // 00000000707C: 854E804E
	s_cselect_b32 s79, s79, 0                                  // 000000007080: 854F804F
	s_add_u32 s12, s56, s12                                    // 000000007084: 800C0C38
	s_addc_u32 s13, 0, s13                                     // 000000007088: 820D0D80
	s_add_u32 s16, s79, s16                                    // 00000000708C: 8010104F
	s_addc_u32 s17, 0, s17                                     // 000000007090: 82111180
	v_cvt_f32_i32_e32 v160, v160                               // 000000007094: 7F400BA0
	v_cvt_f32_i32_e32 v161, v161                               // 000000007098: 7F420BA1
	v_cvt_f32_i32_e32 v162, v162                               // 00000000709C: 7F440BA2
	v_cvt_f32_i32_e32 v163, v163                               // 0000000070A0: 7F460BA3
	v_mul_f32_e32 v160, v22, v160                              // 0000000070A4: 0B414116
	v_mul_f32_e32 v161, v22, v161                              // 0000000070A8: 0B434316
	v_mul_f32_e32 v162, v22, v162                              // 0000000070AC: 0B454516
	v_mul_f32_e32 v163, v22, v163                              // 0000000070B0: 0B474716
	v_mul_f32_dpp v160, v11, v160 row_newbcast:0 row_mask:0xf bank_mask:0xf// 0000000070B4: 0B4140FA FF01500B
	v_mul_f32_dpp v161, v11, v161 row_newbcast:1 row_mask:0xf bank_mask:0xf// 0000000070BC: 0B4342FA FF01510B
	v_mul_f32_dpp v162, v11, v162 row_newbcast:2 row_mask:0xf bank_mask:0xf// 0000000070C4: 0B4544FA FF01520B
	v_mul_f32_dpp v163, v11, v163 row_newbcast:3 row_mask:0xf bank_mask:0xf// 0000000070CC: 0B4746FA FF01530B
	v_mul_f32_e32 v160, v17, v160                              // 0000000070D4: 0B414111
	v_mul_f32_e32 v161, v17, v161                              // 0000000070D8: 0B434311
	v_mul_f32_e32 v162, v17, v162                              // 0000000070DC: 0B454511
	v_mul_f32_e32 v163, v17, v163                              // 0000000070E0: 0B474711
	v_cvt_f32_i32_e32 v164, v164                               // 0000000070E4: 7F480BA4
	v_cvt_f32_i32_e32 v165, v165                               // 0000000070E8: 7F4A0BA5
	v_cvt_f32_i32_e32 v166, v166                               // 0000000070EC: 7F4C0BA6
	v_cvt_f32_i32_e32 v167, v167                               // 0000000070F0: 7F4E0BA7
	v_mul_f32_e32 v164, v23, v164                              // 0000000070F4: 0B494917
	v_mul_f32_e32 v165, v23, v165                              // 0000000070F8: 0B4B4B17
	v_mul_f32_e32 v166, v23, v166                              // 0000000070FC: 0B4D4D17
	v_mul_f32_e32 v167, v23, v167                              // 000000007100: 0B4F4F17
	v_mul_f32_dpp v164, v11, v164 row_newbcast:0 row_mask:0xf bank_mask:0xf// 000000007104: 0B4948FA FF01500B
	v_mul_f32_dpp v165, v11, v165 row_newbcast:1 row_mask:0xf bank_mask:0xf// 00000000710C: 0B4B4AFA FF01510B
	v_mul_f32_dpp v166, v11, v166 row_newbcast:2 row_mask:0xf bank_mask:0xf// 000000007114: 0B4D4CFA FF01520B
	v_mul_f32_dpp v167, v11, v167 row_newbcast:3 row_mask:0xf bank_mask:0xf// 00000000711C: 0B4F4EFA FF01530B
	v_mul_f32_e32 v164, v18, v164                              // 000000007124: 0B494912
	v_mul_f32_e32 v165, v18, v165                              // 000000007128: 0B4B4B12
	v_mul_f32_e32 v166, v18, v166                              // 00000000712C: 0B4D4D12
	v_mul_f32_e32 v167, v18, v167                              // 000000007130: 0B4F4F12
	v_cvt_f32_i32_e32 v168, v168                               // 000000007134: 7F500BA8
	v_cvt_f32_i32_e32 v169, v169                               // 000000007138: 7F520BA9
	v_cvt_f32_i32_e32 v170, v170                               // 00000000713C: 7F540BAA
	v_cvt_f32_i32_e32 v171, v171                               // 000000007140: 7F560BAB
	v_mul_f32_e32 v168, v22, v168                              // 000000007144: 0B515116
	v_mul_f32_e32 v169, v22, v169                              // 000000007148: 0B535316
	v_mul_f32_e32 v170, v22, v170                              // 00000000714C: 0B555516
	v_mul_f32_e32 v171, v22, v171                              // 000000007150: 0B575716
	v_mul_f32_dpp v168, v11, v168 row_newbcast:4 row_mask:0xf bank_mask:0xf// 000000007154: 0B5150FA FF01540B
	v_mul_f32_dpp v169, v11, v169 row_newbcast:5 row_mask:0xf bank_mask:0xf// 00000000715C: 0B5352FA FF01550B
	v_mul_f32_dpp v170, v11, v170 row_newbcast:6 row_mask:0xf bank_mask:0xf// 000000007164: 0B5554FA FF01560B
	v_mul_f32_dpp v171, v11, v171 row_newbcast:7 row_mask:0xf bank_mask:0xf// 00000000716C: 0B5756FA FF01570B
	v_mul_f32_e32 v168, v17, v168                              // 000000007174: 0B515111
	v_mul_f32_e32 v169, v17, v169                              // 000000007178: 0B535311
	v_mul_f32_e32 v170, v17, v170                              // 00000000717C: 0B555511
	v_mul_f32_e32 v171, v17, v171                              // 000000007180: 0B575711
	v_cvt_f32_i32_e32 v172, v172                               // 000000007184: 7F580BAC
	v_cvt_f32_i32_e32 v173, v173                               // 000000007188: 7F5A0BAD
	v_cvt_f32_i32_e32 v174, v174                               // 00000000718C: 7F5C0BAE
	v_cvt_f32_i32_e32 v175, v175                               // 000000007190: 7F5E0BAF
	v_mul_f32_e32 v172, v23, v172                              // 000000007194: 0B595917
	v_mul_f32_e32 v173, v23, v173                              // 000000007198: 0B5B5B17
	v_mul_f32_e32 v174, v23, v174                              // 00000000719C: 0B5D5D17
	v_mul_f32_e32 v175, v23, v175                              // 0000000071A0: 0B5F5F17
	v_mul_f32_dpp v172, v11, v172 row_newbcast:4 row_mask:0xf bank_mask:0xf// 0000000071A4: 0B5958FA FF01540B
	v_mul_f32_dpp v173, v11, v173 row_newbcast:5 row_mask:0xf bank_mask:0xf// 0000000071AC: 0B5B5AFA FF01550B
	v_mul_f32_dpp v174, v11, v174 row_newbcast:6 row_mask:0xf bank_mask:0xf// 0000000071B4: 0B5D5CFA FF01560B
	v_mul_f32_dpp v175, v11, v175 row_newbcast:7 row_mask:0xf bank_mask:0xf// 0000000071BC: 0B5F5EFA FF01570B
	v_mul_f32_e32 v172, v18, v172                              // 0000000071C4: 0B595912
	v_mul_f32_e32 v173, v18, v173                              // 0000000071C8: 0B5B5B12
	v_mul_f32_e32 v174, v18, v174                              // 0000000071CC: 0B5D5D12
	v_mul_f32_e32 v175, v18, v175                              // 0000000071D0: 0B5F5F12
	v_cvt_f32_i32_e32 v176, v176                               // 0000000071D4: 7F600BB0
	v_cvt_f32_i32_e32 v177, v177                               // 0000000071D8: 7F620BB1
	v_cvt_f32_i32_e32 v178, v178                               // 0000000071DC: 7F640BB2
	v_cvt_f32_i32_e32 v179, v179                               // 0000000071E0: 7F660BB3
	v_mul_f32_e32 v176, v22, v176                              // 0000000071E4: 0B616116
	v_mul_f32_e32 v177, v22, v177                              // 0000000071E8: 0B636316
	v_mul_f32_e32 v178, v22, v178                              // 0000000071EC: 0B656516
	v_mul_f32_e32 v179, v22, v179                              // 0000000071F0: 0B676716
	v_mul_f32_dpp v176, v11, v176 row_newbcast:8 row_mask:0xf bank_mask:0xf// 0000000071F4: 0B6160FA FF01580B
	v_mul_f32_dpp v177, v11, v177 row_newbcast:9 row_mask:0xf bank_mask:0xf// 0000000071FC: 0B6362FA FF01590B
	v_mul_f32_dpp v178, v11, v178 row_newbcast:10 row_mask:0xf bank_mask:0xf// 000000007204: 0B6564FA FF015A0B
	v_mul_f32_dpp v179, v11, v179 row_newbcast:11 row_mask:0xf bank_mask:0xf// 00000000720C: 0B6766FA FF015B0B
	v_mul_f32_e32 v176, v17, v176                              // 000000007214: 0B616111
	v_mul_f32_e32 v177, v17, v177                              // 000000007218: 0B636311
	v_mul_f32_e32 v178, v17, v178                              // 00000000721C: 0B656511
	v_mul_f32_e32 v179, v17, v179                              // 000000007220: 0B676711
	v_cvt_f32_i32_e32 v180, v180                               // 000000007224: 7F680BB4
	v_cvt_f32_i32_e32 v181, v181                               // 000000007228: 7F6A0BB5
	v_cvt_f32_i32_e32 v182, v182                               // 00000000722C: 7F6C0BB6
	v_cvt_f32_i32_e32 v183, v183                               // 000000007230: 7F6E0BB7
	v_mul_f32_e32 v180, v23, v180                              // 000000007234: 0B696917
	v_mul_f32_e32 v181, v23, v181                              // 000000007238: 0B6B6B17
	v_mul_f32_e32 v182, v23, v182                              // 00000000723C: 0B6D6D17
	v_mul_f32_e32 v183, v23, v183                              // 000000007240: 0B6F6F17
	v_mul_f32_dpp v180, v11, v180 row_newbcast:8 row_mask:0xf bank_mask:0xf// 000000007244: 0B6968FA FF01580B
	v_mul_f32_dpp v181, v11, v181 row_newbcast:9 row_mask:0xf bank_mask:0xf// 00000000724C: 0B6B6AFA FF01590B
	v_mul_f32_dpp v182, v11, v182 row_newbcast:10 row_mask:0xf bank_mask:0xf// 000000007254: 0B6D6CFA FF015A0B
	v_mul_f32_dpp v183, v11, v183 row_newbcast:11 row_mask:0xf bank_mask:0xf// 00000000725C: 0B6F6EFA FF015B0B
	v_mul_f32_e32 v180, v18, v180                              // 000000007264: 0B696912
	v_mul_f32_e32 v181, v18, v181                              // 000000007268: 0B6B6B12
	v_mul_f32_e32 v182, v18, v182                              // 00000000726C: 0B6D6D12
	v_mul_f32_e32 v183, v18, v183                              // 000000007270: 0B6F6F12
	v_cvt_f32_i32_e32 v184, v184                               // 000000007274: 7F700BB8
	v_cvt_f32_i32_e32 v185, v185                               // 000000007278: 7F720BB9
	v_cvt_f32_i32_e32 v186, v186                               // 00000000727C: 7F740BBA
	v_cvt_f32_i32_e32 v187, v187                               // 000000007280: 7F760BBB
	v_mul_f32_e32 v184, v22, v184                              // 000000007284: 0B717116
	v_mul_f32_e32 v185, v22, v185                              // 000000007288: 0B737316
	v_mul_f32_e32 v186, v22, v186                              // 00000000728C: 0B757516
	v_mul_f32_e32 v187, v22, v187                              // 000000007290: 0B777716
	v_mul_f32_dpp v184, v11, v184 row_newbcast:12 row_mask:0xf bank_mask:0xf// 000000007294: 0B7170FA FF015C0B
	v_mul_f32_dpp v185, v11, v185 row_newbcast:13 row_mask:0xf bank_mask:0xf// 00000000729C: 0B7372FA FF015D0B
	v_mul_f32_dpp v186, v11, v186 row_newbcast:14 row_mask:0xf bank_mask:0xf// 0000000072A4: 0B7574FA FF015E0B
	v_mul_f32_dpp v187, v11, v187 row_newbcast:15 row_mask:0xf bank_mask:0xf// 0000000072AC: 0B7776FA FF015F0B
	v_mul_f32_e32 v184, v17, v184                              // 0000000072B4: 0B717111
	v_mul_f32_e32 v185, v17, v185                              // 0000000072B8: 0B737311
	v_mul_f32_e32 v186, v17, v186                              // 0000000072BC: 0B757511
	v_mul_f32_e32 v187, v17, v187                              // 0000000072C0: 0B777711
	v_cvt_f32_i32_e32 v188, v188                               // 0000000072C4: 7F780BBC
	v_cvt_f32_i32_e32 v189, v189                               // 0000000072C8: 7F7A0BBD
	v_cvt_f32_i32_e32 v190, v190                               // 0000000072CC: 7F7C0BBE
	v_cvt_f32_i32_e32 v191, v191                               // 0000000072D0: 7F7E0BBF
	v_mul_f32_e32 v188, v23, v188                              // 0000000072D4: 0B797917
	v_mul_f32_e32 v189, v23, v189                              // 0000000072D8: 0B7B7B17
	v_mul_f32_e32 v190, v23, v190                              // 0000000072DC: 0B7D7D17
	v_mul_f32_e32 v191, v23, v191                              // 0000000072E0: 0B7F7F17
	v_mul_f32_dpp v188, v11, v188 row_newbcast:12 row_mask:0xf bank_mask:0xf// 0000000072E4: 0B7978FA FF015C0B
	v_mul_f32_dpp v189, v11, v189 row_newbcast:13 row_mask:0xf bank_mask:0xf// 0000000072EC: 0B7B7AFA FF015D0B
	v_mul_f32_dpp v190, v11, v190 row_newbcast:14 row_mask:0xf bank_mask:0xf// 0000000072F4: 0B7D7CFA FF015E0B
	v_mul_f32_dpp v191, v11, v191 row_newbcast:15 row_mask:0xf bank_mask:0xf// 0000000072FC: 0B7F7EFA FF015F0B
	v_mul_f32_e32 v188, v18, v188                              // 000000007304: 0B797912
	v_mul_f32_e32 v189, v18, v189                              // 000000007308: 0B7B7B12
	v_mul_f32_e32 v190, v18, v190                              // 00000000730C: 0B7D7D12
	v_mul_f32_e32 v191, v18, v191                              // 000000007310: 0B7F7F12
	v_cvt_pkrtz_f16_f32 v160, v160, v161                       // 000000007314: D29600A0 000343A0
	v_cvt_pkrtz_f16_f32 v161, v162, v163                       // 00000000731C: D29600A1 000347A2
	v_cvt_pkrtz_f16_f32 v162, v164, v165                       // 000000007324: D29600A2 00034BA4
	v_cvt_pkrtz_f16_f32 v163, v166, v167                       // 00000000732C: D29600A3 00034FA6
	v_cvt_pkrtz_f16_f32 v164, v168, v169                       // 000000007334: D29600A4 000353A8
	v_cvt_pkrtz_f16_f32 v165, v170, v171                       // 00000000733C: D29600A5 000357AA
	v_cvt_pkrtz_f16_f32 v166, v172, v173                       // 000000007344: D29600A6 00035BAC
	v_cvt_pkrtz_f16_f32 v167, v174, v175                       // 00000000734C: D29600A7 00035FAE
	v_cvt_pkrtz_f16_f32 v168, v176, v177                       // 000000007354: D29600A8 000363B0
	v_cvt_pkrtz_f16_f32 v169, v178, v179                       // 00000000735C: D29600A9 000367B2
	v_cvt_pkrtz_f16_f32 v170, v180, v181                       // 000000007364: D29600AA 00036BB4
	v_cvt_pkrtz_f16_f32 v171, v182, v183                       // 00000000736C: D29600AB 00036FB6
	v_cvt_pkrtz_f16_f32 v172, v184, v185                       // 000000007374: D29600AC 000373B8
	v_cvt_pkrtz_f16_f32 v173, v186, v187                       // 00000000737C: D29600AD 000377BA
	v_cvt_pkrtz_f16_f32 v174, v188, v189                       // 000000007384: D29600AE 00037BBC
	v_cvt_pkrtz_f16_f32 v175, v190, v191                       // 00000000738C: D29600AF 00037FBE
	ds_write_b64 v3, v[160:161] offset:26880                   // 000000007394: D89A6900 0000A003
	ds_write_b64 v3, v[162:163] offset:35584                   // 00000000739C: D89A8B00 0000A203
	ds_write_b64 v3, v[164:165] offset:29056                   // 0000000073A4: D89A7180 0000A403
	ds_write_b64 v3, v[166:167] offset:37760                   // 0000000073AC: D89A9380 0000A603
	ds_write_b64 v3, v[168:169] offset:31232                   // 0000000073B4: D89A7A00 0000A803
	ds_write_b64 v3, v[170:171] offset:39936                   // 0000000073BC: D89A9C00 0000AA03
	ds_write_b64 v3, v[172:173] offset:33408                   // 0000000073C4: D89A8280 0000AC03
	ds_write_b64 v3, v[174:175] offset:42112                   // 0000000073CC: D89AA480 0000AE03
	s_waitcnt lgkmcnt(0)                                       // 0000000073D4: BF8CC07F
	s_barrier                                                  // 0000000073D8: BF8A0000
	ds_read_b32 v64, v4 offset:26880                           // 0000000073DC: D86C6900 40000004
	ds_read_b32 v65, v4 offset:31232                           // 0000000073E4: D86C7A00 41000004
	ds_read_b32 v66, v4 offset:26912                           // 0000000073EC: D86C6920 42000004
	ds_read_b32 v67, v4 offset:31264                           // 0000000073F4: D86C7A20 43000004
	ds_read_b32 v68, v4 offset:26944                           // 0000000073FC: D86C6940 44000004
	ds_read_b32 v69, v4 offset:31296                           // 000000007404: D86C7A40 45000004
	ds_read_b32 v70, v4 offset:26976                           // 00000000740C: D86C6960 46000004
	ds_read_b32 v71, v4 offset:31328                           // 000000007414: D86C7A60 47000004
	ds_read_b32 v72, v4 offset:35584                           // 00000000741C: D86C8B00 48000004
	ds_read_b32 v73, v4 offset:39936                           // 000000007424: D86C9C00 49000004
	ds_read_b32 v74, v4 offset:35616                           // 00000000742C: D86C8B20 4A000004
	ds_read_b32 v75, v4 offset:39968                           // 000000007434: D86C9C20 4B000004
	ds_read_b32 v76, v4 offset:35648                           // 00000000743C: D86C8B40 4C000004
	ds_read_b32 v77, v4 offset:40000                           // 000000007444: D86C9C40 4D000004
	ds_read_b32 v78, v4 offset:35680                           // 00000000744C: D86C8B60 4E000004
	ds_read_b32 v79, v4 offset:40032                           // 000000007454: D86C9C60 4F000004
	s_waitcnt lgkmcnt(0)                                       // 00000000745C: BF8CC07F
	s_mov_b64 exec, s[20:21]                                   // 000000007460: BEFE0114
	global_atomic_pk_add_f16 v80, v64, s[8:9]                  // 000000007464: DD388000 00084050
	s_mov_b64 exec, s[36:37]                                   // 00000000746C: BEFE0124
	s_mov_b64 exec, s[20:21]                                   // 000000007470: BEFE0114
	global_atomic_pk_add_f16 v80, v65, s[8:9] offset:256       // 000000007474: DD388100 00084150
	s_mov_b64 exec, s[36:37]                                   // 00000000747C: BEFE0124
	s_mov_b64 exec, s[22:23]                                   // 000000007480: BEFE0116
	global_atomic_pk_add_f16 v82, v66, s[8:9]                  // 000000007484: DD388000 00084252
	s_mov_b64 exec, s[36:37]                                   // 00000000748C: BEFE0124
	s_mov_b64 exec, s[22:23]                                   // 000000007490: BEFE0116
	global_atomic_pk_add_f16 v82, v67, s[8:9] offset:256       // 000000007494: DD388100 00084352
	s_mov_b64 exec, s[36:37]                                   // 00000000749C: BEFE0124
	s_mov_b64 exec, s[24:25]                                   // 0000000074A0: BEFE0118
	global_atomic_pk_add_f16 v84, v68, s[8:9]                  // 0000000074A4: DD388000 00084454
	s_mov_b64 exec, s[36:37]                                   // 0000000074AC: BEFE0124
	s_mov_b64 exec, s[24:25]                                   // 0000000074B0: BEFE0118
	global_atomic_pk_add_f16 v84, v69, s[8:9] offset:256       // 0000000074B4: DD388100 00084554
	s_mov_b64 exec, s[36:37]                                   // 0000000074BC: BEFE0124
	s_mov_b64 exec, s[26:27]                                   // 0000000074C0: BEFE011A
	global_atomic_pk_add_f16 v86, v70, s[8:9]                  // 0000000074C4: DD388000 00084656
	s_mov_b64 exec, s[36:37]                                   // 0000000074CC: BEFE0124
	s_mov_b64 exec, s[26:27]                                   // 0000000074D0: BEFE011A
	global_atomic_pk_add_f16 v86, v71, s[8:9] offset:256       // 0000000074D4: DD388100 00084756
	s_mov_b64 exec, s[36:37]                                   // 0000000074DC: BEFE0124
	s_mov_b64 exec, s[28:29]                                   // 0000000074E0: BEFE011C
	global_atomic_pk_add_f16 v88, v72, s[8:9]                  // 0000000074E4: DD388000 00084858
	s_mov_b64 exec, s[36:37]                                   // 0000000074EC: BEFE0124
	s_mov_b64 exec, s[28:29]                                   // 0000000074F0: BEFE011C
	global_atomic_pk_add_f16 v88, v73, s[8:9] offset:256       // 0000000074F4: DD388100 00084958
	s_mov_b64 exec, s[36:37]                                   // 0000000074FC: BEFE0124
	s_mov_b64 exec, s[30:31]                                   // 000000007500: BEFE011E
	global_atomic_pk_add_f16 v90, v74, s[8:9]                  // 000000007504: DD388000 00084A5A
	s_mov_b64 exec, s[36:37]                                   // 00000000750C: BEFE0124
	s_mov_b64 exec, s[30:31]                                   // 000000007510: BEFE011E
	global_atomic_pk_add_f16 v90, v75, s[8:9] offset:256       // 000000007514: DD388100 00084B5A
	s_mov_b64 exec, s[36:37]                                   // 00000000751C: BEFE0124
	s_mov_b64 exec, s[32:33]                                   // 000000007520: BEFE0120
	global_atomic_pk_add_f16 v92, v76, s[8:9]                  // 000000007524: DD388000 00084C5C
	s_mov_b64 exec, s[36:37]                                   // 00000000752C: BEFE0124
	s_mov_b64 exec, s[32:33]                                   // 000000007530: BEFE0120
	global_atomic_pk_add_f16 v92, v77, s[8:9] offset:256       // 000000007534: DD388100 00084D5C
	s_mov_b64 exec, s[36:37]                                   // 00000000753C: BEFE0124
	s_mov_b64 exec, s[34:35]                                   // 000000007540: BEFE0122
	global_atomic_pk_add_f16 v94, v78, s[8:9]                  // 000000007544: DD388000 00084E5E
	s_mov_b64 exec, s[36:37]                                   // 00000000754C: BEFE0124
	s_mov_b64 exec, s[34:35]                                   // 000000007550: BEFE0122
	global_atomic_pk_add_f16 v94, v79, s[8:9] offset:256       // 000000007554: DD388100 00084F5E
	s_mov_b64 exec, s[36:37]                                   // 00000000755C: BEFE0124
	s_add_u32 s8, s59, s8                                      // 000000007560: 8008083B
	s_addc_u32 s9, 0, s9                                       // 000000007564: 82090980
	s_addk_i32 s80, 0x100                                      // 000000007568: B7500100
	s_cmp_lt_i32 s80, s81                                      // 00000000756C: BF045150
	s_cbranch_scc0 label_0B15                                  // 000000007570: BF84F938
	s_waitcnt vmcnt(29)                                        // 000000007574: BF8C4F7D
	s_barrier                                                  // 000000007578: BF8A0000
	v_mfma_i32_16x16x32_i8 v[192:195], a[64:65], v[128:129], 0 // 00000000757C: D3D700C0 0A030140
	buffer_load_dwordx4 a[0:3], v36, s[12:15], 0 offen         // 000000007584: E05C1000 80830024
	v_mfma_i32_16x16x32_i8 v[192:195], a[66:67], v[130:131], v[192:195]// 00000000758C: D3D700C0 0F030542
	v_mfma_i32_16x16x32_i8 v[196:199], a[64:65], v[144:145], 0 // 000000007594: D3D700C4 0A032140
	v_mfma_i32_16x16x32_i8 v[196:199], a[66:67], v[146:147], v[196:199]// 00000000759C: D3D700C4 0F132542
	v_mfma_i32_16x16x32_i8 v[200:203], a[68:69], v[128:129], 0 // 0000000075A4: D3D700C8 0A030144
	buffer_load_dwordx4 a[4:7], v37, s[12:15], 0 offen         // 0000000075AC: E05C1000 80830425
	v_mfma_i32_16x16x32_i8 v[200:203], a[70:71], v[130:131], v[200:203]// 0000000075B4: D3D700C8 0F230546
	v_mfma_i32_16x16x32_i8 v[204:207], a[68:69], v[144:145], 0 // 0000000075BC: D3D700CC 0A032144
	v_mfma_i32_16x16x32_i8 v[204:207], a[70:71], v[146:147], v[204:207]// 0000000075C4: D3D700CC 0F332546
	v_mfma_i32_16x16x32_i8 v[208:211], a[72:73], v[128:129], 0 // 0000000075CC: D3D700D0 0A030148
	buffer_load_dwordx4 a[8:11], v38, s[12:15], 0 offen        // 0000000075D4: E05C1000 80830826
	v_mfma_i32_16x16x32_i8 v[208:211], a[74:75], v[130:131], v[208:211]// 0000000075DC: D3D700D0 0F43054A
	v_mfma_i32_16x16x32_i8 v[212:215], a[72:73], v[144:145], 0 // 0000000075E4: D3D700D4 0A032148
	v_mfma_i32_16x16x32_i8 v[212:215], a[74:75], v[146:147], v[212:215]// 0000000075EC: D3D700D4 0F53254A
	v_mfma_i32_16x16x32_i8 v[216:219], a[76:77], v[128:129], 0 // 0000000075F4: D3D700D8 0A03014C
	buffer_load_dwordx4 a[12:15], v39, s[12:15], 0 offen       // 0000000075FC: E05C1000 80830C27
	s_add_u32 s12, s78, s12                                    // 000000007604: 800C0C4E
	s_addc_u32 s13, 0, s13                                     // 000000007608: 820D0D80
	v_mfma_i32_16x16x32_i8 v[216:219], a[78:79], v[130:131], v[216:219]// 00000000760C: D3D700D8 0F63054E
	v_mfma_i32_16x16x32_i8 v[220:223], a[76:77], v[144:145], 0 // 000000007614: D3D700DC 0A03214C
	v_mfma_i32_16x16x32_i8 v[220:223], a[78:79], v[146:147], v[220:223]// 00000000761C: D3D700DC 0F73254E
	s_waitcnt vmcnt(29)                                        // 000000007624: BF8C4F7D
	v_mfma_i32_16x16x32_i8 v[192:195], a[80:81], v[132:133], v[192:195]// 000000007628: D3D700C0 0F030950
	buffer_load_dwordx4 a[16:19], v36, s[12:15], 0 offen       // 000000007630: E05C1000 80831024
	v_mfma_i32_16x16x32_i8 v[192:195], a[82:83], v[134:135], v[192:195]// 000000007638: D3D700C0 0F030D52
	v_mfma_i32_16x16x32_i8 v[196:199], a[80:81], v[148:149], v[196:199]// 000000007640: D3D700C4 0F132950
	v_mfma_i32_16x16x32_i8 v[196:199], a[82:83], v[150:151], v[196:199]// 000000007648: D3D700C4 0F132D52
	v_mfma_i32_16x16x32_i8 v[200:203], a[84:85], v[132:133], v[200:203]// 000000007650: D3D700C8 0F230954
	buffer_load_dwordx4 a[20:23], v37, s[12:15], 0 offen       // 000000007658: E05C1000 80831425
	v_mfma_i32_16x16x32_i8 v[200:203], a[86:87], v[134:135], v[200:203]// 000000007660: D3D700C8 0F230D56
	v_mfma_i32_16x16x32_i8 v[204:207], a[84:85], v[148:149], v[204:207]// 000000007668: D3D700CC 0F332954
	v_mfma_i32_16x16x32_i8 v[204:207], a[86:87], v[150:151], v[204:207]// 000000007670: D3D700CC 0F332D56
	v_mfma_i32_16x16x32_i8 v[208:211], a[88:89], v[132:133], v[208:211]// 000000007678: D3D700D0 0F430958
	buffer_load_dwordx4 a[24:27], v38, s[12:15], 0 offen       // 000000007680: E05C1000 80831826
	v_mfma_i32_16x16x32_i8 v[208:211], a[90:91], v[134:135], v[208:211]// 000000007688: D3D700D0 0F430D5A
	v_mfma_i32_16x16x32_i8 v[212:215], a[88:89], v[148:149], v[212:215]// 000000007690: D3D700D4 0F532958
	v_mfma_i32_16x16x32_i8 v[212:215], a[90:91], v[150:151], v[212:215]// 000000007698: D3D700D4 0F532D5A
	v_mfma_i32_16x16x32_i8 v[216:219], a[92:93], v[132:133], v[216:219]// 0000000076A0: D3D700D8 0F63095C
	buffer_load_dwordx4 a[28:31], v39, s[12:15], 0 offen       // 0000000076A8: E05C1000 80831C27
	s_add_u32 s12, s78, s12                                    // 0000000076B0: 800C0C4E
	s_addc_u32 s13, 0, s13                                     // 0000000076B4: 820D0D80
	v_mfma_i32_16x16x32_i8 v[216:219], a[94:95], v[134:135], v[216:219]// 0000000076B8: D3D700D8 0F630D5E
	v_mfma_i32_16x16x32_i8 v[220:223], a[92:93], v[148:149], v[220:223]// 0000000076C0: D3D700DC 0F73295C
	v_mfma_i32_16x16x32_i8 v[220:223], a[94:95], v[150:151], v[220:223]// 0000000076C8: D3D700DC 0F732D5E
	s_waitcnt vmcnt(29)                                        // 0000000076D0: BF8C4F7D
	v_mfma_i32_16x16x32_i8 v[192:195], a[96:97], v[136:137], v[192:195]// 0000000076D4: D3D700C0 0F031160
	buffer_load_dwordx4 a[32:35], v36, s[12:15], 0 offen       // 0000000076DC: E05C1000 80832024
	v_mfma_i32_16x16x32_i8 v[192:195], a[98:99], v[138:139], v[192:195]// 0000000076E4: D3D700C0 0F031562
	v_mfma_i32_16x16x32_i8 v[196:199], a[96:97], v[152:153], v[196:199]// 0000000076EC: D3D700C4 0F133160
	v_mfma_i32_16x16x32_i8 v[196:199], a[98:99], v[154:155], v[196:199]// 0000000076F4: D3D700C4 0F133562
	v_mfma_i32_16x16x32_i8 v[200:203], a[100:101], v[136:137], v[200:203]// 0000000076FC: D3D700C8 0F231164
	buffer_load_dwordx4 a[36:39], v37, s[12:15], 0 offen       // 000000007704: E05C1000 80832425
	v_mfma_i32_16x16x32_i8 v[200:203], a[102:103], v[138:139], v[200:203]// 00000000770C: D3D700C8 0F231566
	v_mfma_i32_16x16x32_i8 v[204:207], a[100:101], v[152:153], v[204:207]// 000000007714: D3D700CC 0F333164
	v_mfma_i32_16x16x32_i8 v[204:207], a[102:103], v[154:155], v[204:207]// 00000000771C: D3D700CC 0F333566
	v_mfma_i32_16x16x32_i8 v[208:211], a[104:105], v[136:137], v[208:211]// 000000007724: D3D700D0 0F431168
	buffer_load_dwordx4 a[40:43], v38, s[12:15], 0 offen       // 00000000772C: E05C1000 80832826
	v_mfma_i32_16x16x32_i8 v[208:211], a[106:107], v[138:139], v[208:211]// 000000007734: D3D700D0 0F43156A
	v_mfma_i32_16x16x32_i8 v[212:215], a[104:105], v[152:153], v[212:215]// 00000000773C: D3D700D4 0F533168
	v_mfma_i32_16x16x32_i8 v[212:215], a[106:107], v[154:155], v[212:215]// 000000007744: D3D700D4 0F53356A
	v_mfma_i32_16x16x32_i8 v[216:219], a[108:109], v[136:137], v[216:219]// 00000000774C: D3D700D8 0F63116C
	buffer_load_dwordx4 a[44:47], v39, s[12:15], 0 offen       // 000000007754: E05C1000 80832C27
	s_add_u32 s12, s78, s12                                    // 00000000775C: 800C0C4E
	s_addc_u32 s13, 0, s13                                     // 000000007760: 820D0D80
	v_mfma_i32_16x16x32_i8 v[216:219], a[110:111], v[138:139], v[216:219]// 000000007764: D3D700D8 0F63156E
	v_mfma_i32_16x16x32_i8 v[220:223], a[108:109], v[152:153], v[220:223]// 00000000776C: D3D700DC 0F73316C
	v_mfma_i32_16x16x32_i8 v[220:223], a[110:111], v[154:155], v[220:223]// 000000007774: D3D700DC 0F73356E
	s_waitcnt vmcnt(28)                                        // 00000000777C: BF8C4F7C
	v_mfma_i32_16x16x32_i8 v[192:195], a[112:113], v[140:141], v[192:195]// 000000007780: D3D700C0 0F031970
	buffer_load_dwordx4 a[48:51], v36, s[12:15], 0 offen       // 000000007788: E05C1000 80833024
	v_mfma_i32_16x16x32_i8 v[192:195], a[114:115], v[142:143], v[192:195]// 000000007790: D3D700C0 0F031D72
	v_mfma_i32_16x16x32_i8 v[196:199], a[112:113], v[156:157], v[196:199]// 000000007798: D3D700C4 0F133970
	buffer_load_dword v11, v5, s[16:19], 0 offen               // 0000000077A0: E0501000 80040B05
	v_mfma_i32_16x16x32_i8 v[196:199], a[114:115], v[158:159], v[196:199]// 0000000077A8: D3D700C4 0F133D72
	v_mfma_i32_16x16x32_i8 v[200:203], a[116:117], v[140:141], v[200:203]// 0000000077B0: D3D700C8 0F231974
	buffer_load_dwordx4 a[52:55], v37, s[12:15], 0 offen       // 0000000077B8: E05C1000 80833425
	v_mfma_i32_16x16x32_i8 v[200:203], a[118:119], v[142:143], v[200:203]// 0000000077C0: D3D700C8 0F231D76
	v_mfma_i32_16x16x32_i8 v[204:207], a[116:117], v[156:157], v[204:207]// 0000000077C8: D3D700CC 0F333974
	v_mfma_i32_16x16x32_i8 v[204:207], a[118:119], v[158:159], v[204:207]// 0000000077D0: D3D700CC 0F333D76
	v_mfma_i32_16x16x32_i8 v[208:211], a[120:121], v[140:141], v[208:211]// 0000000077D8: D3D700D0 0F431978
	buffer_load_dwordx4 a[56:59], v38, s[12:15], 0 offen       // 0000000077E0: E05C1000 80833826
	v_mfma_i32_16x16x32_i8 v[208:211], a[122:123], v[142:143], v[208:211]// 0000000077E8: D3D700D0 0F431D7A
	v_mfma_i32_16x16x32_i8 v[212:215], a[120:121], v[156:157], v[212:215]// 0000000077F0: D3D700D4 0F533978
	v_mfma_i32_16x16x32_i8 v[212:215], a[122:123], v[158:159], v[212:215]// 0000000077F8: D3D700D4 0F533D7A
	v_mfma_i32_16x16x32_i8 v[216:219], a[124:125], v[140:141], v[216:219]// 000000007800: D3D700D8 0F63197C
	buffer_load_dwordx4 a[60:63], v39, s[12:15], 0 offen       // 000000007808: E05C1000 80833C27
	v_mfma_i32_16x16x32_i8 v[216:219], a[126:127], v[142:143], v[216:219]// 000000007810: D3D700D8 0F631D7E
	v_mfma_i32_16x16x32_i8 v[220:223], a[124:125], v[156:157], v[220:223]// 000000007818: D3D700DC 0F73397C
	v_mfma_i32_16x16x32_i8 v[220:223], a[126:127], v[158:159], v[220:223]// 000000007820: D3D700DC 0F733D7E
	s_add_u32 s60, 0x200, s80                                  // 000000007828: 803C50FF 00000200
	s_cmp_lt_u32 s60, s81                                      // 000000007830: BF0A513C
	s_cselect_b32 s56, s56, 0                                  // 000000007834: 85388038
	s_cselect_b32 s78, s78, 0                                  // 000000007838: 854E804E
	s_cselect_b32 s79, s79, 0                                  // 00000000783C: 854F804F
	s_add_u32 s12, s56, s12                                    // 000000007840: 800C0C38
	s_addc_u32 s13, 0, s13                                     // 000000007844: 820D0D80
	s_add_u32 s16, s79, s16                                    // 000000007848: 8010104F
	s_addc_u32 s17, 0, s17                                     // 00000000784C: 82111180
	v_cvt_f32_i32_e32 v192, v192                               // 000000007850: 7F800BC0
	v_cvt_f32_i32_e32 v193, v193                               // 000000007854: 7F820BC1
	v_cvt_f32_i32_e32 v194, v194                               // 000000007858: 7F840BC2
	v_cvt_f32_i32_e32 v195, v195                               // 00000000785C: 7F860BC3
	v_mul_f32_e32 v192, v22, v192                              // 000000007860: 0B818116
	v_mul_f32_e32 v193, v22, v193                              // 000000007864: 0B838316
	v_mul_f32_e32 v194, v22, v194                              // 000000007868: 0B858516
	v_mul_f32_e32 v195, v22, v195                              // 00000000786C: 0B878716
	v_mul_f32_dpp v192, v12, v192 row_newbcast:0 row_mask:0xf bank_mask:0xf// 000000007870: 0B8180FA FF01500C
	v_mul_f32_dpp v193, v12, v193 row_newbcast:1 row_mask:0xf bank_mask:0xf// 000000007878: 0B8382FA FF01510C
	v_mul_f32_dpp v194, v12, v194 row_newbcast:2 row_mask:0xf bank_mask:0xf// 000000007880: 0B8584FA FF01520C
	v_mul_f32_dpp v195, v12, v195 row_newbcast:3 row_mask:0xf bank_mask:0xf// 000000007888: 0B8786FA FF01530C
	v_mul_f32_e32 v192, v17, v192                              // 000000007890: 0B818111
	v_mul_f32_e32 v193, v17, v193                              // 000000007894: 0B838311
	v_mul_f32_e32 v194, v17, v194                              // 000000007898: 0B858511
	v_mul_f32_e32 v195, v17, v195                              // 00000000789C: 0B878711
	v_cvt_f32_i32_e32 v196, v196                               // 0000000078A0: 7F880BC4
	v_cvt_f32_i32_e32 v197, v197                               // 0000000078A4: 7F8A0BC5
	v_cvt_f32_i32_e32 v198, v198                               // 0000000078A8: 7F8C0BC6
	v_cvt_f32_i32_e32 v199, v199                               // 0000000078AC: 7F8E0BC7
	v_mul_f32_e32 v196, v23, v196                              // 0000000078B0: 0B898917
	v_mul_f32_e32 v197, v23, v197                              // 0000000078B4: 0B8B8B17
	v_mul_f32_e32 v198, v23, v198                              // 0000000078B8: 0B8D8D17
	v_mul_f32_e32 v199, v23, v199                              // 0000000078BC: 0B8F8F17
	v_mul_f32_dpp v196, v12, v196 row_newbcast:0 row_mask:0xf bank_mask:0xf// 0000000078C0: 0B8988FA FF01500C
	v_mul_f32_dpp v197, v12, v197 row_newbcast:1 row_mask:0xf bank_mask:0xf// 0000000078C8: 0B8B8AFA FF01510C
	v_mul_f32_dpp v198, v12, v198 row_newbcast:2 row_mask:0xf bank_mask:0xf// 0000000078D0: 0B8D8CFA FF01520C
	v_mul_f32_dpp v199, v12, v199 row_newbcast:3 row_mask:0xf bank_mask:0xf// 0000000078D8: 0B8F8EFA FF01530C
	v_mul_f32_e32 v196, v18, v196                              // 0000000078E0: 0B898912
	v_mul_f32_e32 v197, v18, v197                              // 0000000078E4: 0B8B8B12
	v_mul_f32_e32 v198, v18, v198                              // 0000000078E8: 0B8D8D12
	v_mul_f32_e32 v199, v18, v199                              // 0000000078EC: 0B8F8F12
	v_cvt_f32_i32_e32 v200, v200                               // 0000000078F0: 7F900BC8
	v_cvt_f32_i32_e32 v201, v201                               // 0000000078F4: 7F920BC9
	v_cvt_f32_i32_e32 v202, v202                               // 0000000078F8: 7F940BCA
	v_cvt_f32_i32_e32 v203, v203                               // 0000000078FC: 7F960BCB
	v_mul_f32_e32 v200, v22, v200                              // 000000007900: 0B919116
	v_mul_f32_e32 v201, v22, v201                              // 000000007904: 0B939316
	v_mul_f32_e32 v202, v22, v202                              // 000000007908: 0B959516
	v_mul_f32_e32 v203, v22, v203                              // 00000000790C: 0B979716
	v_mul_f32_dpp v200, v12, v200 row_newbcast:4 row_mask:0xf bank_mask:0xf// 000000007910: 0B9190FA FF01540C
	v_mul_f32_dpp v201, v12, v201 row_newbcast:5 row_mask:0xf bank_mask:0xf// 000000007918: 0B9392FA FF01550C
	v_mul_f32_dpp v202, v12, v202 row_newbcast:6 row_mask:0xf bank_mask:0xf// 000000007920: 0B9594FA FF01560C
	v_mul_f32_dpp v203, v12, v203 row_newbcast:7 row_mask:0xf bank_mask:0xf// 000000007928: 0B9796FA FF01570C
	v_mul_f32_e32 v200, v17, v200                              // 000000007930: 0B919111
	v_mul_f32_e32 v201, v17, v201                              // 000000007934: 0B939311
	v_mul_f32_e32 v202, v17, v202                              // 000000007938: 0B959511
	v_mul_f32_e32 v203, v17, v203                              // 00000000793C: 0B979711
	v_cvt_f32_i32_e32 v204, v204                               // 000000007940: 7F980BCC
	v_cvt_f32_i32_e32 v205, v205                               // 000000007944: 7F9A0BCD
	v_cvt_f32_i32_e32 v206, v206                               // 000000007948: 7F9C0BCE
	v_cvt_f32_i32_e32 v207, v207                               // 00000000794C: 7F9E0BCF
	v_mul_f32_e32 v204, v23, v204                              // 000000007950: 0B999917
	v_mul_f32_e32 v205, v23, v205                              // 000000007954: 0B9B9B17
	v_mul_f32_e32 v206, v23, v206                              // 000000007958: 0B9D9D17
	v_mul_f32_e32 v207, v23, v207                              // 00000000795C: 0B9F9F17
	v_mul_f32_dpp v204, v12, v204 row_newbcast:4 row_mask:0xf bank_mask:0xf// 000000007960: 0B9998FA FF01540C
	v_mul_f32_dpp v205, v12, v205 row_newbcast:5 row_mask:0xf bank_mask:0xf// 000000007968: 0B9B9AFA FF01550C
	v_mul_f32_dpp v206, v12, v206 row_newbcast:6 row_mask:0xf bank_mask:0xf// 000000007970: 0B9D9CFA FF01560C
	v_mul_f32_dpp v207, v12, v207 row_newbcast:7 row_mask:0xf bank_mask:0xf// 000000007978: 0B9F9EFA FF01570C
	v_mul_f32_e32 v204, v18, v204                              // 000000007980: 0B999912
	v_mul_f32_e32 v205, v18, v205                              // 000000007984: 0B9B9B12
	v_mul_f32_e32 v206, v18, v206                              // 000000007988: 0B9D9D12
	v_mul_f32_e32 v207, v18, v207                              // 00000000798C: 0B9F9F12
	v_cvt_f32_i32_e32 v208, v208                               // 000000007990: 7FA00BD0
	v_cvt_f32_i32_e32 v209, v209                               // 000000007994: 7FA20BD1
	v_cvt_f32_i32_e32 v210, v210                               // 000000007998: 7FA40BD2
	v_cvt_f32_i32_e32 v211, v211                               // 00000000799C: 7FA60BD3
	v_mul_f32_e32 v208, v22, v208                              // 0000000079A0: 0BA1A116
	v_mul_f32_e32 v209, v22, v209                              // 0000000079A4: 0BA3A316
	v_mul_f32_e32 v210, v22, v210                              // 0000000079A8: 0BA5A516
	v_mul_f32_e32 v211, v22, v211                              // 0000000079AC: 0BA7A716
	v_mul_f32_dpp v208, v12, v208 row_newbcast:8 row_mask:0xf bank_mask:0xf// 0000000079B0: 0BA1A0FA FF01580C
	v_mul_f32_dpp v209, v12, v209 row_newbcast:9 row_mask:0xf bank_mask:0xf// 0000000079B8: 0BA3A2FA FF01590C
	v_mul_f32_dpp v210, v12, v210 row_newbcast:10 row_mask:0xf bank_mask:0xf// 0000000079C0: 0BA5A4FA FF015A0C
	v_mul_f32_dpp v211, v12, v211 row_newbcast:11 row_mask:0xf bank_mask:0xf// 0000000079C8: 0BA7A6FA FF015B0C
	v_mul_f32_e32 v208, v17, v208                              // 0000000079D0: 0BA1A111
	v_mul_f32_e32 v209, v17, v209                              // 0000000079D4: 0BA3A311
	v_mul_f32_e32 v210, v17, v210                              // 0000000079D8: 0BA5A511
	v_mul_f32_e32 v211, v17, v211                              // 0000000079DC: 0BA7A711
	v_cvt_f32_i32_e32 v212, v212                               // 0000000079E0: 7FA80BD4
	v_cvt_f32_i32_e32 v213, v213                               // 0000000079E4: 7FAA0BD5
	v_cvt_f32_i32_e32 v214, v214                               // 0000000079E8: 7FAC0BD6
	v_cvt_f32_i32_e32 v215, v215                               // 0000000079EC: 7FAE0BD7
	v_mul_f32_e32 v212, v23, v212                              // 0000000079F0: 0BA9A917
	v_mul_f32_e32 v213, v23, v213                              // 0000000079F4: 0BABAB17
	v_mul_f32_e32 v214, v23, v214                              // 0000000079F8: 0BADAD17
	v_mul_f32_e32 v215, v23, v215                              // 0000000079FC: 0BAFAF17
	v_mul_f32_dpp v212, v12, v212 row_newbcast:8 row_mask:0xf bank_mask:0xf// 000000007A00: 0BA9A8FA FF01580C
	v_mul_f32_dpp v213, v12, v213 row_newbcast:9 row_mask:0xf bank_mask:0xf// 000000007A08: 0BABAAFA FF01590C
	v_mul_f32_dpp v214, v12, v214 row_newbcast:10 row_mask:0xf bank_mask:0xf// 000000007A10: 0BADACFA FF015A0C
	v_mul_f32_dpp v215, v12, v215 row_newbcast:11 row_mask:0xf bank_mask:0xf// 000000007A18: 0BAFAEFA FF015B0C
	v_mul_f32_e32 v212, v18, v212                              // 000000007A20: 0BA9A912
	v_mul_f32_e32 v213, v18, v213                              // 000000007A24: 0BABAB12
	v_mul_f32_e32 v214, v18, v214                              // 000000007A28: 0BADAD12
	v_mul_f32_e32 v215, v18, v215                              // 000000007A2C: 0BAFAF12
	v_cvt_f32_i32_e32 v216, v216                               // 000000007A30: 7FB00BD8
	v_cvt_f32_i32_e32 v217, v217                               // 000000007A34: 7FB20BD9
	v_cvt_f32_i32_e32 v218, v218                               // 000000007A38: 7FB40BDA
	v_cvt_f32_i32_e32 v219, v219                               // 000000007A3C: 7FB60BDB
	v_mul_f32_e32 v216, v22, v216                              // 000000007A40: 0BB1B116
	v_mul_f32_e32 v217, v22, v217                              // 000000007A44: 0BB3B316
	v_mul_f32_e32 v218, v22, v218                              // 000000007A48: 0BB5B516
	v_mul_f32_e32 v219, v22, v219                              // 000000007A4C: 0BB7B716
	v_mul_f32_dpp v216, v12, v216 row_newbcast:12 row_mask:0xf bank_mask:0xf// 000000007A50: 0BB1B0FA FF015C0C
	v_mul_f32_dpp v217, v12, v217 row_newbcast:13 row_mask:0xf bank_mask:0xf// 000000007A58: 0BB3B2FA FF015D0C
	v_mul_f32_dpp v218, v12, v218 row_newbcast:14 row_mask:0xf bank_mask:0xf// 000000007A60: 0BB5B4FA FF015E0C
	v_mul_f32_dpp v219, v12, v219 row_newbcast:15 row_mask:0xf bank_mask:0xf// 000000007A68: 0BB7B6FA FF015F0C
	v_mul_f32_e32 v216, v17, v216                              // 000000007A70: 0BB1B111
	v_mul_f32_e32 v217, v17, v217                              // 000000007A74: 0BB3B311
	v_mul_f32_e32 v218, v17, v218                              // 000000007A78: 0BB5B511
	v_mul_f32_e32 v219, v17, v219                              // 000000007A7C: 0BB7B711
	v_cvt_f32_i32_e32 v220, v220                               // 000000007A80: 7FB80BDC
	v_cvt_f32_i32_e32 v221, v221                               // 000000007A84: 7FBA0BDD
	v_cvt_f32_i32_e32 v222, v222                               // 000000007A88: 7FBC0BDE
	v_cvt_f32_i32_e32 v223, v223                               // 000000007A8C: 7FBE0BDF
	v_mul_f32_e32 v220, v23, v220                              // 000000007A90: 0BB9B917
	v_mul_f32_e32 v221, v23, v221                              // 000000007A94: 0BBBBB17
	v_mul_f32_e32 v222, v23, v222                              // 000000007A98: 0BBDBD17
	v_mul_f32_e32 v223, v23, v223                              // 000000007A9C: 0BBFBF17
	v_mul_f32_dpp v220, v12, v220 row_newbcast:12 row_mask:0xf bank_mask:0xf// 000000007AA0: 0BB9B8FA FF015C0C
	v_mul_f32_dpp v221, v12, v221 row_newbcast:13 row_mask:0xf bank_mask:0xf// 000000007AA8: 0BBBBAFA FF015D0C
	v_mul_f32_dpp v222, v12, v222 row_newbcast:14 row_mask:0xf bank_mask:0xf// 000000007AB0: 0BBDBCFA FF015E0C
	v_mul_f32_dpp v223, v12, v223 row_newbcast:15 row_mask:0xf bank_mask:0xf// 000000007AB8: 0BBFBEFA FF015F0C
	v_mul_f32_e32 v220, v18, v220                              // 000000007AC0: 0BB9B912
	v_mul_f32_e32 v221, v18, v221                              // 000000007AC4: 0BBBBB12
	v_mul_f32_e32 v222, v18, v222                              // 000000007AC8: 0BBDBD12
	v_mul_f32_e32 v223, v18, v223                              // 000000007ACC: 0BBFBF12
	v_cvt_pkrtz_f16_f32 v192, v192, v193                       // 000000007AD0: D29600C0 000383C0
	v_cvt_pkrtz_f16_f32 v193, v194, v195                       // 000000007AD8: D29600C1 000387C2
	v_cvt_pkrtz_f16_f32 v194, v196, v197                       // 000000007AE0: D29600C2 00038BC4
	v_cvt_pkrtz_f16_f32 v195, v198, v199                       // 000000007AE8: D29600C3 00038FC6
	v_cvt_pkrtz_f16_f32 v196, v200, v201                       // 000000007AF0: D29600C4 000393C8
	v_cvt_pkrtz_f16_f32 v197, v202, v203                       // 000000007AF8: D29600C5 000397CA
	v_cvt_pkrtz_f16_f32 v198, v204, v205                       // 000000007B00: D29600C6 00039BCC
	v_cvt_pkrtz_f16_f32 v199, v206, v207                       // 000000007B08: D29600C7 00039FCE
	v_cvt_pkrtz_f16_f32 v200, v208, v209                       // 000000007B10: D29600C8 0003A3D0
	v_cvt_pkrtz_f16_f32 v201, v210, v211                       // 000000007B18: D29600C9 0003A7D2
	v_cvt_pkrtz_f16_f32 v202, v212, v213                       // 000000007B20: D29600CA 0003ABD4
	v_cvt_pkrtz_f16_f32 v203, v214, v215                       // 000000007B28: D29600CB 0003AFD6
	v_cvt_pkrtz_f16_f32 v204, v216, v217                       // 000000007B30: D29600CC 0003B3D8
	v_cvt_pkrtz_f16_f32 v205, v218, v219                       // 000000007B38: D29600CD 0003B7DA
	v_cvt_pkrtz_f16_f32 v206, v220, v221                       // 000000007B40: D29600CE 0003BBDC
	v_cvt_pkrtz_f16_f32 v207, v222, v223                       // 000000007B48: D29600CF 0003BFDE
	ds_write_b64 v3, v[192:193] offset:26880                   // 000000007B50: D89A6900 0000C003
	ds_write_b64 v3, v[194:195] offset:35584                   // 000000007B58: D89A8B00 0000C203
	ds_write_b64 v3, v[196:197] offset:29056                   // 000000007B60: D89A7180 0000C403
	ds_write_b64 v3, v[198:199] offset:37760                   // 000000007B68: D89A9380 0000C603
	ds_write_b64 v3, v[200:201] offset:31232                   // 000000007B70: D89A7A00 0000C803
	ds_write_b64 v3, v[202:203] offset:39936                   // 000000007B78: D89A9C00 0000CA03
	ds_write_b64 v3, v[204:205] offset:33408                   // 000000007B80: D89A8280 0000CC03
	ds_write_b64 v3, v[206:207] offset:42112                   // 000000007B88: D89AA480 0000CE03
	s_waitcnt lgkmcnt(0)                                       // 000000007B90: BF8CC07F
	s_barrier                                                  // 000000007B94: BF8A0000
	ds_read_b32 v64, v4 offset:26880                           // 000000007B98: D86C6900 40000004
	ds_read_b32 v65, v4 offset:31232                           // 000000007BA0: D86C7A00 41000004
	ds_read_b32 v66, v4 offset:26912                           // 000000007BA8: D86C6920 42000004
	ds_read_b32 v67, v4 offset:31264                           // 000000007BB0: D86C7A20 43000004
	ds_read_b32 v68, v4 offset:26944                           // 000000007BB8: D86C6940 44000004
	ds_read_b32 v69, v4 offset:31296                           // 000000007BC0: D86C7A40 45000004
	ds_read_b32 v70, v4 offset:26976                           // 000000007BC8: D86C6960 46000004
	ds_read_b32 v71, v4 offset:31328                           // 000000007BD0: D86C7A60 47000004
	ds_read_b32 v72, v4 offset:35584                           // 000000007BD8: D86C8B00 48000004
	ds_read_b32 v73, v4 offset:39936                           // 000000007BE0: D86C9C00 49000004
	ds_read_b32 v74, v4 offset:35616                           // 000000007BE8: D86C8B20 4A000004
	ds_read_b32 v75, v4 offset:39968                           // 000000007BF0: D86C9C20 4B000004
	ds_read_b32 v76, v4 offset:35648                           // 000000007BF8: D86C8B40 4C000004
	ds_read_b32 v77, v4 offset:40000                           // 000000007C00: D86C9C40 4D000004
	ds_read_b32 v78, v4 offset:35680                           // 000000007C08: D86C8B60 4E000004
	ds_read_b32 v79, v4 offset:40032                           // 000000007C10: D86C9C60 4F000004
	s_waitcnt lgkmcnt(0)                                       // 000000007C18: BF8CC07F
	s_mov_b64 exec, s[20:21]                                   // 000000007C1C: BEFE0114
	global_atomic_pk_add_f16 v80, v64, s[8:9]                  // 000000007C20: DD388000 00084050
	s_mov_b64 exec, s[36:37]                                   // 000000007C28: BEFE0124
	s_mov_b64 exec, s[20:21]                                   // 000000007C2C: BEFE0114
	global_atomic_pk_add_f16 v80, v65, s[8:9] offset:256       // 000000007C30: DD388100 00084150
	s_mov_b64 exec, s[36:37]                                   // 000000007C38: BEFE0124
	s_mov_b64 exec, s[22:23]                                   // 000000007C3C: BEFE0116
	global_atomic_pk_add_f16 v82, v66, s[8:9]                  // 000000007C40: DD388000 00084252
	s_mov_b64 exec, s[36:37]                                   // 000000007C48: BEFE0124
	s_mov_b64 exec, s[22:23]                                   // 000000007C4C: BEFE0116
	global_atomic_pk_add_f16 v82, v67, s[8:9] offset:256       // 000000007C50: DD388100 00084352
	s_mov_b64 exec, s[36:37]                                   // 000000007C58: BEFE0124
	s_mov_b64 exec, s[24:25]                                   // 000000007C5C: BEFE0118
	global_atomic_pk_add_f16 v84, v68, s[8:9]                  // 000000007C60: DD388000 00084454
	s_mov_b64 exec, s[36:37]                                   // 000000007C68: BEFE0124
	s_mov_b64 exec, s[24:25]                                   // 000000007C6C: BEFE0118
	global_atomic_pk_add_f16 v84, v69, s[8:9] offset:256       // 000000007C70: DD388100 00084554
	s_mov_b64 exec, s[36:37]                                   // 000000007C78: BEFE0124
	s_mov_b64 exec, s[26:27]                                   // 000000007C7C: BEFE011A
	global_atomic_pk_add_f16 v86, v70, s[8:9]                  // 000000007C80: DD388000 00084656
	s_mov_b64 exec, s[36:37]                                   // 000000007C88: BEFE0124
	s_mov_b64 exec, s[26:27]                                   // 000000007C8C: BEFE011A
	global_atomic_pk_add_f16 v86, v71, s[8:9] offset:256       // 000000007C90: DD388100 00084756
	s_mov_b64 exec, s[36:37]                                   // 000000007C98: BEFE0124
	s_mov_b64 exec, s[28:29]                                   // 000000007C9C: BEFE011C
	global_atomic_pk_add_f16 v88, v72, s[8:9]                  // 000000007CA0: DD388000 00084858
	s_mov_b64 exec, s[36:37]                                   // 000000007CA8: BEFE0124
	s_mov_b64 exec, s[28:29]                                   // 000000007CAC: BEFE011C
	global_atomic_pk_add_f16 v88, v73, s[8:9] offset:256       // 000000007CB0: DD388100 00084958
	s_mov_b64 exec, s[36:37]                                   // 000000007CB8: BEFE0124
	s_mov_b64 exec, s[30:31]                                   // 000000007CBC: BEFE011E
	global_atomic_pk_add_f16 v90, v74, s[8:9]                  // 000000007CC0: DD388000 00084A5A
	s_mov_b64 exec, s[36:37]                                   // 000000007CC8: BEFE0124
	s_mov_b64 exec, s[30:31]                                   // 000000007CCC: BEFE011E
	global_atomic_pk_add_f16 v90, v75, s[8:9] offset:256       // 000000007CD0: DD388100 00084B5A
	s_mov_b64 exec, s[36:37]                                   // 000000007CD8: BEFE0124
	s_mov_b64 exec, s[32:33]                                   // 000000007CDC: BEFE0120
	global_atomic_pk_add_f16 v92, v76, s[8:9]                  // 000000007CE0: DD388000 00084C5C
	s_mov_b64 exec, s[36:37]                                   // 000000007CE8: BEFE0124
	s_mov_b64 exec, s[32:33]                                   // 000000007CEC: BEFE0120
	global_atomic_pk_add_f16 v92, v77, s[8:9] offset:256       // 000000007CF0: DD388100 00084D5C
	s_mov_b64 exec, s[36:37]                                   // 000000007CF8: BEFE0124
	s_mov_b64 exec, s[34:35]                                   // 000000007CFC: BEFE0122
	global_atomic_pk_add_f16 v94, v78, s[8:9]                  // 000000007D00: DD388000 00084E5E
	s_mov_b64 exec, s[36:37]                                   // 000000007D08: BEFE0124
	s_mov_b64 exec, s[34:35]                                   // 000000007D0C: BEFE0122
	global_atomic_pk_add_f16 v94, v79, s[8:9] offset:256       // 000000007D10: DD388100 00084F5E
	s_mov_b64 exec, s[36:37]                                   // 000000007D18: BEFE0124
	s_add_u32 s8, s59, s8                                      // 000000007D1C: 8008083B
	s_addc_u32 s9, 0, s9                                       // 000000007D20: 82090980
	s_addk_i32 s80, 0x100                                      // 000000007D24: B7500100
	s_cmp_lt_i32 s80, s81                                      // 000000007D28: BF045150
	s_cbranch_scc0 label_0B15                                  // 000000007D2C: BF84F749
	s_branch label_0FEE                                        // 000000007D30: BF82FC21

0000000000007d34 <label_13CD>:
	s_waitcnt vmcnt(0) expcnt(0) lgkmcnt(0)                    // 000000007D34: BF8C0000
	s_endpgm                                                   // 000000007D38: BF810000
